;; amdgpu-corpus repo=ROCm/rocFFT kind=compiled arch=gfx906 opt=O3
	.text
	.amdgcn_target "amdgcn-amd-amdhsa--gfx906"
	.amdhsa_code_object_version 6
	.protected	fft_rtc_fwd_len450_factors_10_5_3_3_wgs_120_tpt_30_halfLds_dp_op_CI_CI_sbrr_dirReg ; -- Begin function fft_rtc_fwd_len450_factors_10_5_3_3_wgs_120_tpt_30_halfLds_dp_op_CI_CI_sbrr_dirReg
	.globl	fft_rtc_fwd_len450_factors_10_5_3_3_wgs_120_tpt_30_halfLds_dp_op_CI_CI_sbrr_dirReg
	.p2align	8
	.type	fft_rtc_fwd_len450_factors_10_5_3_3_wgs_120_tpt_30_halfLds_dp_op_CI_CI_sbrr_dirReg,@function
fft_rtc_fwd_len450_factors_10_5_3_3_wgs_120_tpt_30_halfLds_dp_op_CI_CI_sbrr_dirReg: ; @fft_rtc_fwd_len450_factors_10_5_3_3_wgs_120_tpt_30_halfLds_dp_op_CI_CI_sbrr_dirReg
; %bb.0:
	s_load_dwordx4 s[16:19], s[4:5], 0x18
	s_load_dwordx4 s[12:15], s[4:5], 0x0
	;; [unrolled: 1-line block ×3, first 2 shown]
	v_mul_u32_u24_e32 v1, 0x889, v0
	v_lshrrev_b32_e32 v84, 16, v1
	s_waitcnt lgkmcnt(0)
	s_load_dwordx2 s[20:21], s[16:17], 0x0
	s_load_dwordx2 s[2:3], s[18:19], 0x0
	v_cmp_lt_u64_e64 s[0:1], s[14:15], 2
	v_mov_b32_e32 v1, 0
	v_mov_b32_e32 v4, 0
	v_lshl_add_u32 v6, s6, 2, v84
	v_mov_b32_e32 v7, v1
	s_and_b64 vcc, exec, s[0:1]
	v_mov_b32_e32 v5, 0
	s_cbranch_vccnz .LBB0_8
; %bb.1:
	s_load_dwordx2 s[0:1], s[4:5], 0x10
	s_add_u32 s6, s18, 8
	s_addc_u32 s7, s19, 0
	s_add_u32 s22, s16, 8
	v_mov_b32_e32 v4, 0
	s_addc_u32 s23, s17, 0
	v_mov_b32_e32 v5, 0
	s_waitcnt lgkmcnt(0)
	s_add_u32 s24, s0, 8
	v_mov_b32_e32 v81, v5
	s_addc_u32 s25, s1, 0
	s_mov_b64 s[26:27], 1
	v_mov_b32_e32 v80, v4
.LBB0_2:                                ; =>This Inner Loop Header: Depth=1
	s_load_dwordx2 s[28:29], s[24:25], 0x0
                                        ; implicit-def: $vgpr82_vgpr83
	s_waitcnt lgkmcnt(0)
	v_or_b32_e32 v2, s29, v7
	v_cmp_ne_u64_e32 vcc, 0, v[1:2]
	s_and_saveexec_b64 s[0:1], vcc
	s_xor_b64 s[30:31], exec, s[0:1]
	s_cbranch_execz .LBB0_4
; %bb.3:                                ;   in Loop: Header=BB0_2 Depth=1
	v_cvt_f32_u32_e32 v2, s28
	v_cvt_f32_u32_e32 v3, s29
	s_sub_u32 s0, 0, s28
	s_subb_u32 s1, 0, s29
	v_mac_f32_e32 v2, 0x4f800000, v3
	v_rcp_f32_e32 v2, v2
	v_mul_f32_e32 v2, 0x5f7ffffc, v2
	v_mul_f32_e32 v3, 0x2f800000, v2
	v_trunc_f32_e32 v3, v3
	v_mac_f32_e32 v2, 0xcf800000, v3
	v_cvt_u32_f32_e32 v3, v3
	v_cvt_u32_f32_e32 v2, v2
	v_mul_lo_u32 v8, s0, v3
	v_mul_hi_u32 v9, s0, v2
	v_mul_lo_u32 v11, s1, v2
	v_mul_lo_u32 v10, s0, v2
	v_add_u32_e32 v8, v9, v8
	v_add_u32_e32 v8, v8, v11
	v_mul_hi_u32 v9, v2, v10
	v_mul_lo_u32 v11, v2, v8
	v_mul_hi_u32 v13, v2, v8
	v_mul_hi_u32 v12, v3, v10
	v_mul_lo_u32 v10, v3, v10
	v_mul_hi_u32 v14, v3, v8
	v_add_co_u32_e32 v9, vcc, v9, v11
	v_addc_co_u32_e32 v11, vcc, 0, v13, vcc
	v_mul_lo_u32 v8, v3, v8
	v_add_co_u32_e32 v9, vcc, v9, v10
	v_addc_co_u32_e32 v9, vcc, v11, v12, vcc
	v_addc_co_u32_e32 v10, vcc, 0, v14, vcc
	v_add_co_u32_e32 v8, vcc, v9, v8
	v_addc_co_u32_e32 v9, vcc, 0, v10, vcc
	v_add_co_u32_e32 v2, vcc, v2, v8
	v_addc_co_u32_e32 v3, vcc, v3, v9, vcc
	v_mul_lo_u32 v8, s0, v3
	v_mul_hi_u32 v9, s0, v2
	v_mul_lo_u32 v10, s1, v2
	v_mul_lo_u32 v11, s0, v2
	v_add_u32_e32 v8, v9, v8
	v_add_u32_e32 v8, v8, v10
	v_mul_lo_u32 v12, v2, v8
	v_mul_hi_u32 v13, v2, v11
	v_mul_hi_u32 v14, v2, v8
	;; [unrolled: 1-line block ×3, first 2 shown]
	v_mul_lo_u32 v11, v3, v11
	v_mul_hi_u32 v9, v3, v8
	v_add_co_u32_e32 v12, vcc, v13, v12
	v_addc_co_u32_e32 v13, vcc, 0, v14, vcc
	v_mul_lo_u32 v8, v3, v8
	v_add_co_u32_e32 v11, vcc, v12, v11
	v_addc_co_u32_e32 v10, vcc, v13, v10, vcc
	v_addc_co_u32_e32 v9, vcc, 0, v9, vcc
	v_add_co_u32_e32 v8, vcc, v10, v8
	v_addc_co_u32_e32 v9, vcc, 0, v9, vcc
	v_add_co_u32_e32 v8, vcc, v2, v8
	v_addc_co_u32_e32 v9, vcc, v3, v9, vcc
	v_mad_u64_u32 v[2:3], s[0:1], v6, v9, 0
	v_mul_hi_u32 v10, v6, v8
	v_add_co_u32_e32 v10, vcc, v10, v2
	v_addc_co_u32_e32 v11, vcc, 0, v3, vcc
	v_mad_u64_u32 v[2:3], s[0:1], v7, v8, 0
	v_mad_u64_u32 v[8:9], s[0:1], v7, v9, 0
	v_add_co_u32_e32 v2, vcc, v10, v2
	v_addc_co_u32_e32 v2, vcc, v11, v3, vcc
	v_addc_co_u32_e32 v3, vcc, 0, v9, vcc
	v_add_co_u32_e32 v8, vcc, v2, v8
	v_addc_co_u32_e32 v9, vcc, 0, v3, vcc
	v_mul_lo_u32 v10, s29, v8
	v_mul_lo_u32 v11, s28, v9
	v_mad_u64_u32 v[2:3], s[0:1], s28, v8, 0
	v_add3_u32 v3, v3, v11, v10
	v_sub_u32_e32 v10, v7, v3
	v_mov_b32_e32 v11, s29
	v_sub_co_u32_e32 v2, vcc, v6, v2
	v_subb_co_u32_e64 v10, s[0:1], v10, v11, vcc
	v_subrev_co_u32_e64 v11, s[0:1], s28, v2
	v_subbrev_co_u32_e64 v10, s[0:1], 0, v10, s[0:1]
	v_cmp_le_u32_e64 s[0:1], s29, v10
	v_cndmask_b32_e64 v12, 0, -1, s[0:1]
	v_cmp_le_u32_e64 s[0:1], s28, v11
	v_cndmask_b32_e64 v11, 0, -1, s[0:1]
	v_cmp_eq_u32_e64 s[0:1], s29, v10
	v_cndmask_b32_e64 v10, v12, v11, s[0:1]
	v_add_co_u32_e64 v11, s[0:1], 2, v8
	v_addc_co_u32_e64 v12, s[0:1], 0, v9, s[0:1]
	v_add_co_u32_e64 v13, s[0:1], 1, v8
	v_addc_co_u32_e64 v14, s[0:1], 0, v9, s[0:1]
	v_subb_co_u32_e32 v3, vcc, v7, v3, vcc
	v_cmp_ne_u32_e64 s[0:1], 0, v10
	v_cmp_le_u32_e32 vcc, s29, v3
	v_cndmask_b32_e64 v10, v14, v12, s[0:1]
	v_cndmask_b32_e64 v12, 0, -1, vcc
	v_cmp_le_u32_e32 vcc, s28, v2
	v_cndmask_b32_e64 v2, 0, -1, vcc
	v_cmp_eq_u32_e32 vcc, s29, v3
	v_cndmask_b32_e32 v2, v12, v2, vcc
	v_cmp_ne_u32_e32 vcc, 0, v2
	v_cndmask_b32_e64 v2, v13, v11, s[0:1]
	v_cndmask_b32_e32 v83, v9, v10, vcc
	v_cndmask_b32_e32 v82, v8, v2, vcc
.LBB0_4:                                ;   in Loop: Header=BB0_2 Depth=1
	s_andn2_saveexec_b64 s[0:1], s[30:31]
	s_cbranch_execz .LBB0_6
; %bb.5:                                ;   in Loop: Header=BB0_2 Depth=1
	v_cvt_f32_u32_e32 v2, s28
	s_sub_i32 s30, 0, s28
	v_mov_b32_e32 v83, v1
	v_rcp_iflag_f32_e32 v2, v2
	v_mul_f32_e32 v2, 0x4f7ffffe, v2
	v_cvt_u32_f32_e32 v2, v2
	v_mul_lo_u32 v3, s30, v2
	v_mul_hi_u32 v3, v2, v3
	v_add_u32_e32 v2, v2, v3
	v_mul_hi_u32 v2, v6, v2
	v_mul_lo_u32 v3, v2, s28
	v_add_u32_e32 v8, 1, v2
	v_sub_u32_e32 v3, v6, v3
	v_subrev_u32_e32 v9, s28, v3
	v_cmp_le_u32_e32 vcc, s28, v3
	v_cndmask_b32_e32 v3, v3, v9, vcc
	v_cndmask_b32_e32 v2, v2, v8, vcc
	v_add_u32_e32 v8, 1, v2
	v_cmp_le_u32_e32 vcc, s28, v3
	v_cndmask_b32_e32 v82, v2, v8, vcc
.LBB0_6:                                ;   in Loop: Header=BB0_2 Depth=1
	s_or_b64 exec, exec, s[0:1]
	v_mul_lo_u32 v8, v83, s28
	v_mul_lo_u32 v9, v82, s29
	v_mad_u64_u32 v[2:3], s[0:1], v82, s28, 0
	s_load_dwordx2 s[0:1], s[22:23], 0x0
	s_load_dwordx2 s[28:29], s[6:7], 0x0
	v_add3_u32 v3, v3, v9, v8
	v_sub_co_u32_e32 v2, vcc, v6, v2
	v_subb_co_u32_e32 v3, vcc, v7, v3, vcc
	s_waitcnt lgkmcnt(0)
	v_mul_lo_u32 v6, s0, v3
	v_mul_lo_u32 v7, s1, v2
	v_mad_u64_u32 v[4:5], s[0:1], s0, v2, v[4:5]
	v_mul_lo_u32 v3, s28, v3
	v_mul_lo_u32 v8, s29, v2
	v_mad_u64_u32 v[80:81], s[0:1], s28, v2, v[80:81]
	s_add_u32 s26, s26, 1
	s_addc_u32 s27, s27, 0
	s_add_u32 s6, s6, 8
	v_add3_u32 v81, v8, v81, v3
	s_addc_u32 s7, s7, 0
	v_mov_b32_e32 v2, s14
	s_add_u32 s22, s22, 8
	v_mov_b32_e32 v3, s15
	s_addc_u32 s23, s23, 0
	v_cmp_ge_u64_e32 vcc, s[26:27], v[2:3]
	s_add_u32 s24, s24, 8
	v_add3_u32 v5, v7, v5, v6
	s_addc_u32 s25, s25, 0
	s_cbranch_vccnz .LBB0_9
; %bb.7:                                ;   in Loop: Header=BB0_2 Depth=1
	v_mov_b32_e32 v6, v82
	v_mov_b32_e32 v7, v83
	s_branch .LBB0_2
.LBB0_8:
	v_mov_b32_e32 v81, v5
	v_mov_b32_e32 v83, v7
	;; [unrolled: 1-line block ×4, first 2 shown]
.LBB0_9:
	s_load_dwordx2 s[0:1], s[4:5], 0x28
	s_lshl_b64 s[14:15], s[14:15], 3
	s_add_u32 s4, s18, s14
	s_addc_u32 s5, s19, s15
                                        ; implicit-def: $vgpr106
	s_waitcnt lgkmcnt(0)
	v_cmp_gt_u64_e32 vcc, s[0:1], v[82:83]
	v_cmp_le_u64_e64 s[0:1], s[0:1], v[82:83]
	s_and_saveexec_b64 s[6:7], s[0:1]
	s_xor_b64 s[0:1], exec, s[6:7]
; %bb.10:
	s_mov_b32 s6, 0x8888889
	v_mul_hi_u32 v1, v0, s6
                                        ; implicit-def: $vgpr4_vgpr5
	v_mul_u32_u24_e32 v1, 30, v1
	v_sub_u32_e32 v106, v0, v1
                                        ; implicit-def: $vgpr0
; %bb.11:
	s_or_saveexec_b64 s[6:7], s[0:1]
	s_load_dwordx2 s[4:5], s[4:5], 0x0
                                        ; implicit-def: $vgpr66_vgpr67
                                        ; implicit-def: $vgpr78_vgpr79
                                        ; implicit-def: $vgpr70_vgpr71
                                        ; implicit-def: $vgpr74_vgpr75
                                        ; implicit-def: $vgpr58_vgpr59
                                        ; implicit-def: $vgpr62_vgpr63
                                        ; implicit-def: $vgpr50_vgpr51
                                        ; implicit-def: $vgpr54_vgpr55
                                        ; implicit-def: $vgpr14_vgpr15
                                        ; implicit-def: $vgpr22_vgpr23
                                        ; implicit-def: $vgpr34_vgpr35
                                        ; implicit-def: $vgpr42_vgpr43
                                        ; implicit-def: $vgpr38_vgpr39
                                        ; implicit-def: $vgpr46_vgpr47
                                        ; implicit-def: $vgpr26_vgpr27
                                        ; implicit-def: $vgpr30_vgpr31
                                        ; implicit-def: $vgpr10_vgpr11
                                        ; implicit-def: $vgpr18_vgpr19
                                        ; implicit-def: $vgpr2_vgpr3
                                        ; implicit-def: $vgpr6_vgpr7
	s_xor_b64 exec, exec, s[6:7]
	s_cbranch_execz .LBB0_15
; %bb.12:
	s_add_u32 s0, s16, s14
	s_mov_b32 s14, 0x8888889
	s_addc_u32 s1, s17, s15
	v_mul_hi_u32 v1, v0, s14
	s_load_dwordx2 s[0:1], s[0:1], 0x0
                                        ; implicit-def: $vgpr52_vgpr53
                                        ; implicit-def: $vgpr48_vgpr49
                                        ; implicit-def: $vgpr60_vgpr61
                                        ; implicit-def: $vgpr56_vgpr57
                                        ; implicit-def: $vgpr72_vgpr73
                                        ; implicit-def: $vgpr68_vgpr69
                                        ; implicit-def: $vgpr76_vgpr77
                                        ; implicit-def: $vgpr64_vgpr65
	v_mul_u32_u24_e32 v1, 30, v1
	v_sub_u32_e32 v106, v0, v1
	s_waitcnt lgkmcnt(0)
	v_mul_lo_u32 v8, s1, v82
	v_mad_u64_u32 v[0:1], s[14:15], s20, v106, 0
	v_mul_lo_u32 v9, s0, v83
	v_mad_u64_u32 v[2:3], s[0:1], s0, v82, 0
	v_add_u32_e32 v17, 0x87, v106
	v_add_u32_e32 v24, 0xe1, v106
	v_mad_u64_u32 v[6:7], s[0:1], s21, v106, v[1:2]
	v_add3_u32 v3, v3, v9, v8
	v_lshlrev_b64 v[2:3], 4, v[2:3]
	v_mov_b32_e32 v1, v6
	v_mov_b32_e32 v6, s9
	v_add_co_u32_e64 v7, s[0:1], s8, v2
	v_add_u32_e32 v8, 45, v106
	v_addc_co_u32_e64 v6, s[0:1], v6, v3, s[0:1]
	v_lshlrev_b64 v[2:3], 4, v[4:5]
	v_mad_u64_u32 v[4:5], s[0:1], s20, v8, 0
	v_add_co_u32_e64 v66, s[0:1], v7, v2
	v_mov_b32_e32 v2, v5
	v_addc_co_u32_e64 v67, s[0:1], v6, v3, s[0:1]
	v_mad_u64_u32 v[2:3], s[0:1], s21, v8, v[2:3]
	v_lshlrev_b64 v[0:1], 4, v[0:1]
	v_add_u32_e32 v32, 0x13b, v106
	v_add_co_u32_e64 v8, s[0:1], v66, v0
	v_mov_b32_e32 v5, v2
	v_add_u32_e32 v2, 0x5a, v106
	v_addc_co_u32_e64 v9, s[0:1], v67, v1, s[0:1]
	v_mad_u64_u32 v[10:11], s[0:1], s20, v2, 0
	v_lshlrev_b64 v[0:1], 4, v[4:5]
	v_add_co_u32_e64 v12, s[0:1], v66, v0
	v_mov_b32_e32 v0, v11
	v_addc_co_u32_e64 v13, s[0:1], v67, v1, s[0:1]
	v_mad_u64_u32 v[14:15], s[0:1], s21, v2, v[0:1]
	v_mad_u64_u32 v[15:16], s[0:1], s20, v17, 0
	v_mov_b32_e32 v11, v14
	global_load_dwordx4 v[4:7], v[8:9], off
	global_load_dwordx4 v[0:3], v[12:13], off
	v_lshlrev_b64 v[8:9], 4, v[10:11]
	v_mov_b32_e32 v10, v16
	v_mad_u64_u32 v[10:11], s[0:1], s21, v17, v[10:11]
	v_add_co_u32_e64 v12, s[0:1], v66, v8
	v_mov_b32_e32 v16, v10
	v_add_u32_e32 v10, 0xb4, v106
	v_addc_co_u32_e64 v13, s[0:1], v67, v9, s[0:1]
	v_lshlrev_b64 v[8:9], 4, v[15:16]
	v_mad_u64_u32 v[14:15], s[0:1], s20, v10, 0
	v_add_co_u32_e64 v20, s[0:1], v66, v8
	v_mov_b32_e32 v8, v15
	v_addc_co_u32_e64 v21, s[0:1], v67, v9, s[0:1]
	v_mad_u64_u32 v[15:16], s[0:1], s21, v10, v[8:9]
	v_mad_u64_u32 v[22:23], s[0:1], s20, v24, 0
	global_load_dwordx4 v[16:19], v[12:13], off
	global_load_dwordx4 v[8:11], v[20:21], off
	v_lshlrev_b64 v[12:13], 4, v[14:15]
	v_mov_b32_e32 v14, v23
	v_mad_u64_u32 v[14:15], s[0:1], s21, v24, v[14:15]
	v_add_co_u32_e64 v12, s[0:1], v66, v12
	v_mov_b32_e32 v23, v14
	v_lshlrev_b64 v[14:15], 4, v[22:23]
	v_add_u32_e32 v22, 0x10e, v106
	v_addc_co_u32_e64 v13, s[0:1], v67, v13, s[0:1]
	v_mad_u64_u32 v[20:21], s[0:1], s20, v22, 0
	v_add_co_u32_e64 v14, s[0:1], v66, v14
	v_addc_co_u32_e64 v15, s[0:1], v67, v15, s[0:1]
	v_mad_u64_u32 v[21:22], s[0:1], s21, v22, v[21:22]
	v_mad_u64_u32 v[22:23], s[0:1], s20, v32, 0
	global_load_dwordx4 v[28:31], v[12:13], off
	global_load_dwordx4 v[24:27], v[14:15], off
	v_lshlrev_b64 v[12:13], 4, v[20:21]
	v_mov_b32_e32 v14, v23
	v_mad_u64_u32 v[14:15], s[0:1], s21, v32, v[14:15]
	v_add_co_u32_e64 v12, s[0:1], v66, v12
	v_mov_b32_e32 v23, v14
	v_lshlrev_b64 v[14:15], 4, v[22:23]
	v_add_u32_e32 v22, 0x168, v106
	v_addc_co_u32_e64 v13, s[0:1], v67, v13, s[0:1]
	v_mad_u64_u32 v[20:21], s[0:1], s20, v22, 0
	v_add_co_u32_e64 v14, s[0:1], v66, v14
	v_addc_co_u32_e64 v15, s[0:1], v67, v15, s[0:1]
	v_mad_u64_u32 v[21:22], s[0:1], s21, v22, v[21:22]
	v_add_u32_e32 v32, 0x195, v106
	v_mad_u64_u32 v[22:23], s[0:1], s20, v32, 0
	global_load_dwordx4 v[44:47], v[12:13], off
	global_load_dwordx4 v[36:39], v[14:15], off
	v_lshlrev_b64 v[12:13], 4, v[20:21]
	v_mov_b32_e32 v14, v23
	v_mad_u64_u32 v[14:15], s[0:1], s21, v32, v[14:15]
	v_add_co_u32_e64 v12, s[0:1], v66, v12
	v_mov_b32_e32 v23, v14
	v_lshlrev_b64 v[14:15], 4, v[22:23]
	v_addc_co_u32_e64 v13, s[0:1], v67, v13, s[0:1]
	v_add_co_u32_e64 v14, s[0:1], v66, v14
	v_addc_co_u32_e64 v15, s[0:1], v67, v15, s[0:1]
	global_load_dwordx4 v[40:43], v[12:13], off
	global_load_dwordx4 v[32:35], v[14:15], off
	v_cmp_gt_u32_e64 s[0:1], 15, v106
                                        ; implicit-def: $vgpr20_vgpr21
                                        ; implicit-def: $vgpr12_vgpr13
	s_and_saveexec_b64 s[8:9], s[0:1]
	s_cbranch_execz .LBB0_14
; %bb.13:
	v_add_u32_e32 v20, 30, v106
	v_add_u32_e32 v22, 0x4b, v106
	v_mad_u64_u32 v[12:13], s[0:1], s20, v20, 0
	v_mad_u64_u32 v[14:15], s[0:1], s20, v22, 0
	v_add_u32_e32 v57, 0xa5, v106
	v_add_u32_e32 v68, 0xff, v106
	v_mad_u64_u32 v[20:21], s[0:1], s21, v20, v[13:14]
	v_add_u32_e32 v75, 0x159, v106
	v_add_u32_e32 v88, 0x1b3, v106
	v_mov_b32_e32 v13, v20
	s_waitcnt vmcnt(7)
	v_mad_u64_u32 v[20:21], s[0:1], s21, v22, v[15:16]
	v_lshlrev_b64 v[12:13], 4, v[12:13]
	v_add_co_u32_e64 v48, s[0:1], v66, v12
	v_mov_b32_e32 v15, v20
	v_addc_co_u32_e64 v49, s[0:1], v67, v13, s[0:1]
	v_lshlrev_b64 v[12:13], 4, v[14:15]
	v_add_u32_e32 v14, 0x78, v106
	v_mad_u64_u32 v[50:51], s[0:1], s20, v14, 0
	v_add_co_u32_e64 v52, s[0:1], v66, v12
	v_mov_b32_e32 v12, v51
	v_addc_co_u32_e64 v53, s[0:1], v67, v13, s[0:1]
	v_mad_u64_u32 v[54:55], s[0:1], s21, v14, v[12:13]
	v_mad_u64_u32 v[55:56], s[0:1], s20, v57, 0
	v_mov_b32_e32 v51, v54
	global_load_dwordx4 v[20:23], v[48:49], off
	global_load_dwordx4 v[12:15], v[52:53], off
	v_lshlrev_b64 v[48:49], 4, v[50:51]
	v_mov_b32_e32 v50, v56
	v_mad_u64_u32 v[50:51], s[0:1], s21, v57, v[50:51]
	v_add_co_u32_e64 v57, s[0:1], v66, v48
	v_mov_b32_e32 v56, v50
	v_add_u32_e32 v50, 0xd2, v106
	v_addc_co_u32_e64 v58, s[0:1], v67, v49, s[0:1]
	v_mad_u64_u32 v[59:60], s[0:1], s20, v50, 0
	v_lshlrev_b64 v[48:49], 4, v[55:56]
	v_add_co_u32_e64 v61, s[0:1], v66, v48
	v_mov_b32_e32 v48, v60
	v_addc_co_u32_e64 v62, s[0:1], v67, v49, s[0:1]
	v_mad_u64_u32 v[63:64], s[0:1], s21, v50, v[48:49]
	v_mad_u64_u32 v[64:65], s[0:1], s20, v68, 0
	global_load_dwordx4 v[52:55], v[57:58], off
	global_load_dwordx4 v[48:51], v[61:62], off
	v_mov_b32_e32 v60, v63
	v_mov_b32_e32 v58, v65
	v_lshlrev_b64 v[56:57], 4, v[59:60]
	v_mad_u64_u32 v[58:59], s[0:1], s21, v68, v[58:59]
	v_add_co_u32_e64 v68, s[0:1], v66, v56
	v_mov_b32_e32 v65, v58
	v_add_u32_e32 v58, 0x12c, v106
	v_addc_co_u32_e64 v69, s[0:1], v67, v57, s[0:1]
	v_lshlrev_b64 v[56:57], 4, v[64:65]
	v_mad_u64_u32 v[64:65], s[0:1], s20, v58, 0
	v_add_co_u32_e64 v70, s[0:1], v66, v56
	v_mov_b32_e32 v56, v65
	v_addc_co_u32_e64 v71, s[0:1], v67, v57, s[0:1]
	v_mad_u64_u32 v[72:73], s[0:1], s21, v58, v[56:57]
	v_mad_u64_u32 v[73:74], s[0:1], s20, v75, 0
	global_load_dwordx4 v[60:63], v[68:69], off
	global_load_dwordx4 v[56:59], v[70:71], off
	v_mov_b32_e32 v65, v72
	v_mov_b32_e32 v68, v74
	v_lshlrev_b64 v[64:65], 4, v[64:65]
	v_mad_u64_u32 v[68:69], s[0:1], s21, v75, v[68:69]
	v_add_co_u32_e64 v64, s[0:1], v66, v64
	v_add_u32_e32 v70, 0x186, v106
	v_addc_co_u32_e64 v65, s[0:1], v67, v65, s[0:1]
	v_mad_u64_u32 v[76:77], s[0:1], s20, v70, 0
	v_mov_b32_e32 v74, v68
	v_lshlrev_b64 v[68:69], 4, v[73:74]
	v_add_co_u32_e64 v78, s[0:1], v66, v68
	v_mov_b32_e32 v68, v77
	v_addc_co_u32_e64 v79, s[0:1], v67, v69, s[0:1]
	v_mad_u64_u32 v[85:86], s[0:1], s21, v70, v[68:69]
	v_mad_u64_u32 v[86:87], s[0:1], s20, v88, 0
	v_mov_b32_e32 v77, v85
	global_load_dwordx4 v[72:75], v[64:65], off
	global_load_dwordx4 v[68:71], v[78:79], off
	v_lshlrev_b64 v[64:65], 4, v[76:77]
	v_mov_b32_e32 v76, v87
	v_mad_u64_u32 v[76:77], s[0:1], s21, v88, v[76:77]
	v_add_co_u32_e64 v88, s[0:1], v66, v64
	v_mov_b32_e32 v87, v76
	v_addc_co_u32_e64 v89, s[0:1], v67, v65, s[0:1]
	v_lshlrev_b64 v[64:65], 4, v[86:87]
	v_add_co_u32_e64 v85, s[0:1], v66, v64
	v_addc_co_u32_e64 v86, s[0:1], v67, v65, s[0:1]
	global_load_dwordx4 v[76:79], v[88:89], off
	global_load_dwordx4 v[64:67], v[85:86], off
.LBB0_14:
	s_or_b64 exec, exec, s[8:9]
.LBB0_15:
	s_or_b64 exec, exec, s[6:7]
	s_waitcnt vmcnt(3)
	v_add_f64 v[85:86], v[44:45], v[28:29]
	s_waitcnt vmcnt(1)
	v_add_f64 v[89:90], v[18:19], -v[42:43]
	s_mov_b32 s8, 0x134454ff
	s_mov_b32 s9, 0x3fee6f0e
	v_add_f64 v[91:92], v[30:31], -v[46:47]
	v_add_f64 v[93:94], v[16:17], -v[28:29]
	;; [unrolled: 1-line block ×3, first 2 shown]
	v_add_f64 v[97:98], v[40:41], v[16:17]
	v_fma_f64 v[85:86], v[85:86], -0.5, v[4:5]
	s_mov_b32 s6, 0x4755a5e
	s_mov_b32 s7, 0x3fe2cf23
	v_add_f64 v[87:88], v[16:17], v[4:5]
	s_mov_b32 s14, 0x372fe950
	s_mov_b32 s15, 0x3fd3c6ef
	v_add_f64 v[107:108], v[95:96], v[93:94]
	v_fma_f64 v[4:5], v[97:98], -0.5, v[4:5]
	v_fma_f64 v[99:100], v[89:90], s[8:9], v[85:86]
	s_mov_b32 s17, 0xbfee6f0e
	s_mov_b32 s16, s8
	v_add_f64 v[101:102], v[28:29], -v[16:17]
	v_add_f64 v[103:104], v[44:45], -v[40:41]
	v_add_f64 v[97:98], v[36:37], v[24:25]
	v_add_f64 v[95:96], v[8:9], v[0:1]
	v_fma_f64 v[85:86], v[89:90], s[16:17], v[85:86]
	v_fma_f64 v[93:94], v[91:92], s[6:7], v[99:100]
	;; [unrolled: 1-line block ×4, first 2 shown]
	s_mov_b32 s19, 0xbfe2cf23
	s_mov_b32 s18, s6
	s_waitcnt vmcnt(0)
	v_add_f64 v[109:110], v[10:11], -v[34:35]
	v_fma_f64 v[97:98], v[97:98], -0.5, v[0:1]
	v_fma_f64 v[85:86], v[91:92], s[18:19], v[85:86]
	v_fma_f64 v[120:121], v[107:108], s[14:15], v[93:94]
	v_add_f64 v[93:94], v[32:33], v[8:9]
	v_fma_f64 v[99:100], v[89:90], s[6:7], v[99:100]
	v_add_f64 v[101:102], v[103:104], v[101:102]
	v_add_f64 v[91:92], v[24:25], v[95:96]
	v_add_f64 v[103:104], v[26:27], -v[38:39]
	v_add_f64 v[111:112], v[32:33], -v[36:37]
	v_add_f64 v[113:114], v[38:39], v[26:27]
	v_fma_f64 v[115:116], v[89:90], s[18:19], v[4:5]
	v_fma_f64 v[0:1], v[93:94], -0.5, v[0:1]
	v_add_f64 v[93:94], v[8:9], -v[24:25]
	v_add_f64 v[89:90], v[34:35], v[10:11]
	v_fma_f64 v[95:96], v[109:110], s[8:9], v[97:98]
	v_fma_f64 v[4:5], v[109:110], s[16:17], v[97:98]
	v_add_f64 v[117:118], v[36:37], v[91:92]
	v_add_f64 v[87:88], v[28:29], v[87:88]
	v_add_f64 v[122:123], v[34:35], -v[38:39]
	v_fma_f64 v[91:92], v[103:104], s[16:17], v[0:1]
	v_add_f64 v[97:98], v[111:112], v[93:94]
	v_fma_f64 v[93:94], v[113:114], -0.5, v[2:3]
	v_add_f64 v[111:112], v[8:9], -v[32:33]
	v_add_f64 v[113:114], v[24:25], -v[36:37]
	v_fma_f64 v[89:90], v[89:90], -0.5, v[2:3]
	v_add_f64 v[8:9], v[24:25], -v[8:9]
	v_add_f64 v[24:25], v[36:37], -v[32:33]
	v_fma_f64 v[0:1], v[103:104], s[8:9], v[0:1]
	v_fma_f64 v[95:96], v[103:104], s[6:7], v[95:96]
	;; [unrolled: 1-line block ×5, first 2 shown]
	v_add_f64 v[103:104], v[10:11], -v[26:27]
	v_fma_f64 v[124:125], v[113:114], s[8:9], v[89:90]
	v_add_f64 v[126:127], v[26:27], -v[10:11]
	v_add_f64 v[128:129], v[38:39], -v[34:35]
	v_fma_f64 v[89:90], v[113:114], s[16:17], v[89:90]
	v_add_f64 v[8:9], v[24:25], v[8:9]
	v_fma_f64 v[24:25], v[109:110], s[18:19], v[0:1]
	v_fma_f64 v[109:110], v[111:112], s[8:9], v[93:94]
	v_add_f64 v[87:88], v[44:45], v[87:88]
	v_fma_f64 v[36:37], v[113:114], s[18:19], v[36:37]
	v_add_f64 v[103:104], v[122:123], v[103:104]
	;; [unrolled: 2-line block ×3, first 2 shown]
	v_fma_f64 v[111:112], v[111:112], s[6:7], v[89:90]
	v_fma_f64 v[94:95], v[97:98], s[14:15], v[95:96]
	;; [unrolled: 1-line block ×6, first 2 shown]
	s_mov_b32 s20, 0x9b97f4a8
	s_mov_b32 s21, 0x3fe9e377
	v_add_f64 v[87:88], v[40:41], v[87:88]
	v_fma_f64 v[8:9], v[103:104], s[14:15], v[36:37]
	v_fma_f64 v[24:25], v[124:125], s[14:15], v[122:123]
	;; [unrolled: 1-line block ×3, first 2 shown]
	v_mul_f64 v[109:110], v[94:95], s[20:21]
	v_mul_f64 v[111:112], v[90:91], s[14:15]
	;; [unrolled: 1-line block ×3, first 2 shown]
	v_fma_f64 v[96:97], v[103:104], s[14:15], v[92:93]
	v_mul_f64 v[92:93], v[0:1], s[20:21]
	v_add_f64 v[32:33], v[32:33], v[117:118]
	v_add_f64 v[118:119], v[68:69], v[56:57]
	;; [unrolled: 1-line block ×3, first 2 shown]
	v_fma_f64 v[98:99], v[101:102], s[14:15], v[99:100]
	v_fma_f64 v[100:101], v[101:102], s[14:15], v[115:116]
	;; [unrolled: 1-line block ×4, first 2 shown]
	v_fma_f64 v[124:125], v[36:37], s[8:9], -v[113:114]
	v_fma_f64 v[85:86], v[107:108], s[14:15], v[85:86]
	v_fma_f64 v[92:93], v[96:97], s[6:7], -v[92:93]
	v_add_f64 v[108:109], v[32:33], v[87:88]
	v_fma_f64 v[128:129], v[118:119], -0.5, v[12:13]
	v_add_f64 v[130:131], v[50:51], -v[66:67]
	v_add_f64 v[118:119], v[87:88], -v[32:33]
	;; [unrolled: 1-line block ×3, first 2 shown]
	v_fma_f64 v[87:88], v[126:127], -0.5, v[12:13]
	v_add_f64 v[110:111], v[120:121], v[102:103]
	v_add_f64 v[112:113], v[98:99], v[104:105]
	;; [unrolled: 1-line block ×4, first 2 shown]
	v_add_f64 v[120:121], v[120:121], -v[102:103]
	v_add_f64 v[122:123], v[98:99], -v[104:105]
	;; [unrolled: 1-line block ×3, first 2 shown]
	v_add_f64 v[98:99], v[70:71], v[58:59]
	v_add_f64 v[126:127], v[85:86], -v[92:93]
	v_add_f64 v[92:93], v[48:49], -v[56:57]
	;; [unrolled: 1-line block ×3, first 2 shown]
	v_fma_f64 v[102:103], v[130:131], s[16:17], v[128:129]
	v_fma_f64 v[104:105], v[32:33], s[16:17], v[87:88]
	v_add_f64 v[136:137], v[66:67], v[50:51]
	v_fma_f64 v[85:86], v[130:131], s[8:9], v[128:129]
	v_add_f64 v[128:129], v[56:57], -v[48:49]
	v_fma_f64 v[98:99], v[98:99], -0.5, v[14:15]
	v_add_f64 v[132:133], v[48:49], -v[64:65]
	v_add_f64 v[134:135], v[68:69], -v[64:65]
	v_fma_f64 v[87:88], v[32:33], s[8:9], v[87:88]
	v_add_f64 v[92:93], v[100:101], v[92:93]
	v_fma_f64 v[100:101], v[32:33], s[18:19], v[102:103]
	v_fma_f64 v[102:103], v[130:131], s[6:7], v[104:105]
	v_add_f64 v[104:105], v[56:57], -v[68:69]
	v_fma_f64 v[136:137], v[136:137], -0.5, v[14:15]
	v_fma_f64 v[85:86], v[32:33], s[6:7], v[85:86]
	v_fma_f64 v[32:33], v[132:133], s[16:17], v[98:99]
	v_add_f64 v[138:139], v[50:51], -v[58:59]
	v_add_f64 v[140:141], v[66:67], -v[70:71]
	v_fma_f64 v[98:99], v[132:133], s[8:9], v[98:99]
	v_add_f64 v[142:143], v[58:59], -v[50:51]
	v_add_f64 v[144:145], v[70:71], -v[66:67]
	v_add_f64 v[128:129], v[134:135], v[128:129]
	v_fma_f64 v[87:88], v[130:131], s[18:19], v[87:88]
	v_fma_f64 v[130:131], v[104:105], s[8:9], v[136:137]
	;; [unrolled: 1-line block ×4, first 2 shown]
	v_add_f64 v[138:139], v[140:141], v[138:139]
	v_fma_f64 v[98:99], v[104:105], s[6:7], v[98:99]
	v_add_f64 v[140:141], v[144:145], v[142:143]
	v_and_b32_e32 v32, 3, v84
	v_fma_f64 v[104:105], v[92:93], s[14:15], v[85:86]
	v_fma_f64 v[130:131], v[132:133], s[18:19], v[130:131]
	;; [unrolled: 1-line block ×8, first 2 shown]
	v_mul_u32_u24_e32 v33, 10, v106
	v_fma_f64 v[92:93], v[140:141], s[14:15], v[130:131]
	v_fma_f64 v[102:103], v[140:141], s[14:15], v[132:133]
	v_mul_u32_u24_e32 v32, 0x1c2, v32
	v_lshl_add_u32 v33, v33, 3, 0
	v_lshl_add_u32 v107, v32, 3, v33
	v_cmp_gt_u32_e64 s[0:1], 15, v106
	ds_write_b128 v107, v[108:111]
	ds_write_b128 v107, v[112:115] offset:16
	ds_write_b128 v107, v[116:119] offset:32
	;; [unrolled: 1-line block ×4, first 2 shown]
	s_and_saveexec_b64 s[22:23], s[0:1]
	s_cbranch_execz .LBB0_17
; %bb.16:
	v_add_f64 v[108:109], v[72:73], v[60:61]
	v_add_f64 v[110:111], v[76:77], v[52:53]
	v_add_f64 v[116:117], v[54:55], -v[78:79]
	v_add_f64 v[12:13], v[48:49], v[12:13]
	v_add_f64 v[118:119], v[62:63], -v[74:75]
	v_add_f64 v[112:113], v[52:53], -v[60:61]
	v_add_f64 v[114:115], v[76:77], -v[72:73]
	v_add_f64 v[122:123], v[60:61], -v[52:53]
	v_fma_f64 v[108:109], v[108:109], -0.5, v[20:21]
	v_fma_f64 v[110:111], v[110:111], -0.5, v[20:21]
	v_add_f64 v[20:21], v[52:53], v[20:21]
	v_add_f64 v[124:125], v[72:73], -v[76:77]
	v_add_f64 v[12:13], v[56:57], v[12:13]
	v_mul_f64 v[120:121], v[84:85], s[20:21]
	v_add_f64 v[112:113], v[114:115], v[112:113]
	v_mul_f64 v[126:127], v[86:87], s[14:15]
	v_fma_f64 v[56:57], v[116:117], s[8:9], v[108:109]
	v_fma_f64 v[128:129], v[116:117], s[16:17], v[108:109]
	v_add_f64 v[20:21], v[60:61], v[20:21]
	v_fma_f64 v[130:131], v[118:119], s[8:9], v[110:111]
	v_fma_f64 v[110:111], v[118:119], s[16:17], v[110:111]
	v_add_f64 v[114:115], v[124:125], v[122:123]
	v_mul_f64 v[124:125], v[104:105], s[20:21]
	v_add_f64 v[12:13], v[68:69], v[12:13]
	v_fma_f64 v[56:57], v[118:119], s[6:7], v[56:57]
	v_mul_f64 v[48:49], v[100:101], s[14:15]
	v_add_f64 v[20:21], v[72:73], v[20:21]
	v_fma_f64 v[108:109], v[118:119], s[18:19], v[128:129]
	v_fma_f64 v[122:123], v[116:117], s[18:19], v[130:131]
	;; [unrolled: 1-line block ×3, first 2 shown]
	v_fma_f64 v[116:117], v[98:99], s[6:7], -v[120:121]
	v_add_f64 v[12:13], v[64:65], v[12:13]
	v_fma_f64 v[64:65], v[88:89], s[6:7], v[124:125]
	v_fma_f64 v[56:57], v[112:113], s[14:15], v[56:57]
	v_add_f64 v[20:21], v[76:77], v[20:21]
	v_fma_f64 v[68:69], v[112:113], s[14:15], v[108:109]
	v_fma_f64 v[108:109], v[114:115], s[14:15], v[122:123]
	v_fma_f64 v[128:129], v[102:103], s[8:9], -v[126:127]
	v_fma_f64 v[120:121], v[114:115], s[14:15], v[110:111]
	v_fma_f64 v[48:49], v[92:93], s[8:9], v[48:49]
	v_add_f64 v[126:127], v[56:57], v[64:65]
	v_add_f64 v[124:125], v[12:13], v[20:21]
	v_add_f64 v[110:111], v[68:69], -v[116:117]
	v_add_f64 v[118:119], v[20:21], -v[12:13]
	v_add_f64 v[122:123], v[108:109], v[128:129]
	v_add_f64 v[116:117], v[68:69], v[116:117]
	v_add_f64 v[114:115], v[120:121], -v[48:49]
	v_add_f64 v[120:121], v[120:121], v[48:49]
	v_add_f64 v[112:113], v[56:57], -v[64:65]
	v_add_f64 v[108:109], v[108:109], -v[128:129]
	ds_write_b128 v107, v[124:127] offset:2400
	ds_write_b128 v107, v[120:123] offset:2416
	;; [unrolled: 1-line block ×5, first 2 shown]
.LBB0_17:
	s_or_b64 exec, exec, s[22:23]
	v_add_f64 v[12:13], v[46:47], v[30:31]
	v_add_f64 v[20:21], v[42:43], v[18:19]
	v_add_f64 v[48:49], v[18:19], v[6:7]
	v_add_f64 v[16:17], v[16:17], -v[40:41]
	v_add_f64 v[28:29], v[28:29], -v[44:45]
	v_add_f64 v[2:3], v[10:11], v[2:3]
	v_add_f64 v[40:41], v[18:19], -v[30:31]
	v_add_f64 v[44:45], v[42:43], -v[46:47]
	v_fma_f64 v[12:13], v[12:13], -0.5, v[6:7]
	v_fma_f64 v[6:7], v[20:21], -0.5, v[6:7]
	v_add_f64 v[18:19], v[30:31], -v[18:19]
	v_add_f64 v[20:21], v[46:47], -v[42:43]
	v_add_f64 v[30:31], v[30:31], v[48:49]
	v_add_f64 v[2:3], v[26:27], v[2:3]
	v_mul_f64 v[10:11], v[94:95], s[18:19]
	v_add_f64 v[26:27], v[44:45], v[40:41]
	v_fma_f64 v[48:49], v[16:17], s[16:17], v[12:13]
	v_fma_f64 v[12:13], v[16:17], s[8:9], v[12:13]
	;; [unrolled: 1-line block ×4, first 2 shown]
	v_add_f64 v[18:19], v[20:21], v[18:19]
	v_add_f64 v[20:21], v[46:47], v[30:31]
	;; [unrolled: 1-line block ×3, first 2 shown]
	v_mul_f64 v[56:57], v[90:91], s[16:17]
	v_fma_f64 v[30:31], v[28:29], s[18:19], v[48:49]
	v_fma_f64 v[12:13], v[28:29], s[6:7], v[12:13]
	;; [unrolled: 1-line block ×4, first 2 shown]
	v_mul_f64 v[16:17], v[36:37], s[14:15]
	v_mul_f64 v[36:37], v[96:97], s[20:21]
	v_add_f64 v[20:21], v[42:43], v[20:21]
	v_add_f64 v[2:3], v[34:35], v[2:3]
	v_fma_f64 v[30:31], v[26:27], s[14:15], v[30:31]
	v_fma_f64 v[12:13], v[26:27], s[14:15], v[12:13]
	;; [unrolled: 1-line block ×5, first 2 shown]
	v_fma_f64 v[0:1], v[0:1], s[18:19], -v[36:37]
	v_fma_f64 v[10:11], v[24:25], s[14:15], v[56:57]
	v_fma_f64 v[4:5], v[4:5], s[16:17], -v[16:17]
	v_add_f64 v[40:41], v[2:3], v[20:21]
	v_add_f64 v[96:97], v[20:21], -v[2:3]
	v_lshlrev_b32_e32 v20, 3, v32
	s_waitcnt lgkmcnt(0)
	v_add_f64 v[42:43], v[30:31], v[8:9]
	v_add_f64 v[94:95], v[12:13], v[0:1]
	v_add_f64 v[114:115], v[12:13], -v[0:1]
	v_lshlrev_b32_e32 v0, 3, v106
	v_add3_u32 v36, 0, v20, v0
	v_add_u32_e32 v0, 0, v0
	v_add_u32_e32 v37, v0, v20
	;; [unrolled: 1-line block ×3, first 2 shown]
	v_add_f64 v[44:45], v[26:27], v[10:11]
	v_add_f64 v[46:47], v[6:7], v[4:5]
	v_add_f64 v[108:109], v[30:31], -v[8:9]
	v_add_f64 v[110:111], v[26:27], -v[10:11]
	;; [unrolled: 1-line block ×3, first 2 shown]
	s_barrier
	ds_read_b64 v[12:13], v36
	ds_read2_b64 v[32:35], v37 offset0:90 offset1:120
	ds_read2_b64 v[8:11], v37 offset0:150 offset1:180
	ds_read2_b64 v[28:31], v39 offset0:14 offset1:44
	ds_read2_b64 v[4:7], v39 offset0:74 offset1:104
	ds_read2_b64 v[0:3], v37 offset0:30 offset1:60
	ds_read2_b64 v[24:27], v37 offset0:210 offset1:240
	ds_read2_b64 v[16:19], v39 offset0:134 offset1:164
	v_add_u32_e32 v38, 30, v106
	s_waitcnt lgkmcnt(0)
	s_barrier
	ds_write_b128 v107, v[40:43]
	ds_write_b128 v107, v[44:47] offset:16
	ds_write_b128 v107, v[94:97] offset:32
	;; [unrolled: 1-line block ×4, first 2 shown]
	s_and_saveexec_b64 s[6:7], s[0:1]
	s_cbranch_execz .LBB0_19
; %bb.18:
	v_add_f64 v[40:41], v[74:75], v[62:63]
	v_add_f64 v[42:43], v[54:55], v[22:23]
	v_add_f64 v[44:45], v[52:53], -v[76:77]
	v_add_f64 v[52:53], v[78:79], v[54:55]
	s_mov_b32 s0, 0x134454ff
	s_mov_b32 s1, 0xbfee6f0e
	v_add_f64 v[46:47], v[60:61], -v[72:73]
	v_add_f64 v[14:15], v[50:51], v[14:15]
	v_fma_f64 v[40:41], v[40:41], -0.5, v[22:23]
	v_add_f64 v[42:43], v[62:63], v[42:43]
	v_add_f64 v[48:49], v[54:55], -v[62:63]
	v_fma_f64 v[21:22], v[52:53], -0.5, v[22:23]
	v_add_f64 v[56:57], v[78:79], -v[74:75]
	s_mov_b32 s8, 0x4755a5e
	s_mov_b32 s17, 0x3fee6f0e
	;; [unrolled: 1-line block ×3, first 2 shown]
	v_fma_f64 v[60:61], v[44:45], s[0:1], v[40:41]
	s_mov_b32 s9, 0xbfe2cf23
	v_add_f64 v[52:53], v[62:63], -v[54:55]
	v_add_f64 v[42:43], v[74:75], v[42:43]
	v_fma_f64 v[54:55], v[46:47], s[16:17], v[21:22]
	v_fma_f64 v[21:22], v[46:47], s[0:1], v[21:22]
	v_add_f64 v[14:15], v[58:59], v[14:15]
	v_add_f64 v[48:49], v[56:57], v[48:49]
	v_fma_f64 v[50:51], v[46:47], s[8:9], v[60:61]
	v_fma_f64 v[40:41], v[44:45], s[16:17], v[40:41]
	v_add_f64 v[56:57], v[74:75], -v[78:79]
	s_mov_b32 s19, 0x3fe2cf23
	s_mov_b32 s18, s8
	v_add_f64 v[58:59], v[78:79], v[42:43]
	v_fma_f64 v[42:43], v[44:45], s[8:9], v[54:55]
	v_fma_f64 v[21:22], v[44:45], s[18:19], v[21:22]
	v_add_f64 v[14:15], v[70:71], v[14:15]
	v_mul_f64 v[44:45], v[104:105], s[8:9]
	s_mov_b32 s16, 0x9b97f4a8
	v_fma_f64 v[60:61], v[48:49], s[14:15], v[50:51]
	v_fma_f64 v[40:41], v[46:47], s[18:19], v[40:41]
	v_add_f64 v[46:47], v[56:57], v[52:53]
	s_mov_b32 s17, 0x3fe9e377
	v_mul_f64 v[50:51], v[100:101], s[0:1]
	v_mul_f64 v[52:53], v[102:103], s[14:15]
	;; [unrolled: 1-line block ×3, first 2 shown]
	v_add_f64 v[14:15], v[66:67], v[14:15]
	v_fma_f64 v[64:65], v[88:89], s[16:17], v[44:45]
	v_fma_f64 v[62:63], v[48:49], s[14:15], v[40:41]
	;; [unrolled: 1-line block ×5, first 2 shown]
	v_fma_f64 v[68:69], v[86:87], s[0:1], -v[52:53]
	v_fma_f64 v[70:71], v[84:85], s[8:9], -v[54:55]
	v_add_f64 v[40:41], v[14:15], v[58:59]
	v_add_f64 v[42:43], v[60:61], v[64:65]
	v_add_f64 v[50:51], v[58:59], -v[14:15]
	v_add_f64 v[52:53], v[60:61], -v[64:65]
	v_mul_u32_u24_e32 v14, 10, v38
	v_add_f64 v[44:45], v[56:57], v[66:67]
	v_add_f64 v[46:47], v[21:22], v[68:69]
	;; [unrolled: 1-line block ×3, first 2 shown]
	v_add_f64 v[54:55], v[56:57], -v[66:67]
	v_add_f64 v[56:57], v[21:22], -v[68:69]
	;; [unrolled: 1-line block ×3, first 2 shown]
	v_lshlrev_b32_e32 v14, 3, v14
	v_add3_u32 v14, 0, v14, v20
	ds_write_b128 v14, v[40:43]
	ds_write_b128 v14, v[44:47] offset:16
	ds_write_b128 v14, v[48:51] offset:32
	;; [unrolled: 1-line block ×4, first 2 shown]
.LBB0_19:
	s_or_b64 exec, exec, s[6:7]
	s_movk_i32 s0, 0xcd
	v_mul_lo_u16_sdwa v14, v106, s0 dst_sel:DWORD dst_unused:UNUSED_PAD src0_sel:BYTE_0 src1_sel:DWORD
	v_lshrrev_b16_e32 v14, 11, v14
	v_mul_lo_u16_e32 v15, 10, v14
	v_sub_u16_e32 v15, v106, v15
	v_mov_b32_e32 v21, 6
	v_lshlrev_b32_sdwa v22, v21, v15 dst_sel:DWORD dst_unused:UNUSED_PAD src0_sel:DWORD src1_sel:BYTE_0
	s_waitcnt lgkmcnt(0)
	s_barrier
	global_load_dwordx4 v[42:45], v22, s[12:13] offset:16
	global_load_dwordx4 v[46:49], v22, s[12:13]
	global_load_dwordx4 v[50:53], v22, s[12:13] offset:48
	global_load_dwordx4 v[54:57], v22, s[12:13] offset:32
	v_mul_lo_u16_sdwa v22, v38, s0 dst_sel:DWORD dst_unused:UNUSED_PAD src0_sel:BYTE_0 src1_sel:DWORD
	v_lshrrev_b16_e32 v147, 11, v22
	v_mul_lo_u16_e32 v22, 10, v147
	v_sub_u16_e32 v148, v38, v22
	v_lshlrev_b32_sdwa v22, v21, v148 dst_sel:DWORD dst_unused:UNUSED_PAD src0_sel:DWORD src1_sel:BYTE_0
	global_load_dwordx4 v[58:61], v22, s[12:13] offset:16
	global_load_dwordx4 v[62:65], v22, s[12:13]
	global_load_dwordx4 v[66:69], v22, s[12:13] offset:48
	global_load_dwordx4 v[70:73], v22, s[12:13] offset:32
	v_add_u32_e32 v40, 60, v106
	v_mul_lo_u16_sdwa v22, v40, s0 dst_sel:DWORD dst_unused:UNUSED_PAD src0_sel:BYTE_0 src1_sel:DWORD
	v_lshrrev_b16_e32 v149, 11, v22
	v_mul_lo_u16_e32 v22, 10, v149
	v_sub_u16_e32 v150, v40, v22
	v_lshlrev_b32_sdwa v21, v21, v150 dst_sel:DWORD dst_unused:UNUSED_PAD src0_sel:DWORD src1_sel:BYTE_0
	global_load_dwordx4 v[74:77], v21, s[12:13]
	global_load_dwordx4 v[84:87], v21, s[12:13] offset:16
	global_load_dwordx4 v[88:91], v21, s[12:13] offset:32
	;; [unrolled: 1-line block ×3, first 2 shown]
	ds_read_b64 v[21:22], v36
	ds_read2_b64 v[96:99], v37 offset0:90 offset1:120
	ds_read2_b64 v[100:103], v37 offset0:150 offset1:180
	;; [unrolled: 1-line block ×7, first 2 shown]
	s_mov_b32 s8, 0x134454ff
	s_mov_b32 s9, 0x3fee6f0e
	;; [unrolled: 1-line block ×10, first 2 shown]
	s_waitcnt vmcnt(0) lgkmcnt(0)
	s_barrier
	v_add_u32_e32 v41, 0x5a, v106
	v_mul_f64 v[104:105], v[102:103], v[44:45]
	v_mul_f64 v[78:79], v[96:97], v[48:49]
	;; [unrolled: 1-line block ×12, first 2 shown]
	v_fma_f64 v[32:33], v[32:33], v[46:47], -v[78:79]
	v_fma_f64 v[10:11], v[10:11], v[42:43], -v[104:105]
	;; [unrolled: 1-line block ×4, first 2 shown]
	v_mul_f64 v[133:134], v[119:120], v[60:61]
	v_mul_f64 v[60:61], v[24:25], v[60:61]
	;; [unrolled: 1-line block ×4, first 2 shown]
	v_fma_f64 v[46:47], v[96:97], v[46:47], v[48:49]
	v_fma_f64 v[42:43], v[102:103], v[42:43], v[44:45]
	;; [unrolled: 1-line block ×6, first 2 shown]
	v_add_f64 v[68:69], v[10:11], v[28:29]
	v_add_f64 v[72:73], v[32:33], v[6:7]
	v_mul_f64 v[131:132], v[98:99], v[64:65]
	v_mul_f64 v[64:65], v[34:35], v[64:65]
	;; [unrolled: 1-line block ×6, first 2 shown]
	v_fma_f64 v[23:24], v[24:25], v[58:59], -v[133:134]
	v_fma_f64 v[52:53], v[119:120], v[58:59], v[60:61]
	v_fma_f64 v[30:31], v[30:31], v[70:71], -v[135:136]
	v_fma_f64 v[16:17], v[16:17], v[66:67], -v[137:138]
	;; [unrolled: 1-line block ×3, first 2 shown]
	v_fma_f64 v[58:59], v[100:101], v[74:75], v[76:77]
	v_add_f64 v[66:67], v[12:13], v[32:33]
	v_add_f64 v[70:71], v[46:47], -v[48:49]
	v_add_f64 v[74:75], v[42:43], -v[44:45]
	;; [unrolled: 1-line block ×4, first 2 shown]
	v_fma_f64 v[68:69], v[68:69], -0.5, v[12:13]
	v_fma_f64 v[12:13], v[72:73], -0.5, v[12:13]
	v_add_f64 v[72:73], v[42:43], v[44:45]
	v_fma_f64 v[34:35], v[34:35], v[62:63], -v[131:132]
	v_fma_f64 v[50:51], v[98:99], v[62:63], v[64:65]
	v_fma_f64 v[25:26], v[26:27], v[84:85], -v[141:142]
	v_fma_f64 v[60:61], v[121:122], v[84:85], v[86:87]
	;; [unrolled: 2-line block ×3, first 2 shown]
	v_add_f64 v[84:85], v[10:11], -v[32:33]
	v_add_f64 v[86:87], v[28:29], -v[6:7]
	v_add_f64 v[88:89], v[21:22], v[46:47]
	v_add_f64 v[90:91], v[10:11], -v[28:29]
	v_add_f64 v[10:11], v[66:67], v[10:11]
	v_add_f64 v[66:67], v[76:77], v[78:79]
	v_fma_f64 v[76:77], v[70:71], s[8:9], v[68:69]
	v_fma_f64 v[68:69], v[70:71], s[16:17], v[68:69]
	;; [unrolled: 1-line block ×4, first 2 shown]
	v_add_f64 v[32:33], v[32:33], -v[6:7]
	v_fma_f64 v[72:73], v[72:73], -0.5, v[21:22]
	v_add_f64 v[84:85], v[84:85], v[86:87]
	v_add_f64 v[86:87], v[88:89], v[42:43]
	;; [unrolled: 1-line block ×3, first 2 shown]
	v_fma_f64 v[27:28], v[74:75], s[0:1], v[76:77]
	v_fma_f64 v[68:69], v[74:75], s[14:15], v[68:69]
	;; [unrolled: 1-line block ×4, first 2 shown]
	v_add_f64 v[70:71], v[46:47], v[48:49]
	v_fma_f64 v[78:79], v[32:33], s[16:17], v[72:73]
	v_add_f64 v[76:77], v[86:87], v[44:45]
	v_add_f64 v[6:7], v[10:11], v[6:7]
	v_fma_f64 v[10:11], v[66:67], s[6:7], v[27:28]
	v_fma_f64 v[27:28], v[66:67], s[6:7], v[68:69]
	;; [unrolled: 1-line block ×3, first 2 shown]
	v_add_f64 v[74:75], v[46:47], -v[42:43]
	v_fma_f64 v[21:22], v[70:71], -0.5, v[21:22]
	v_fma_f64 v[70:71], v[90:91], s[14:15], v[78:79]
	v_add_f64 v[78:79], v[0:1], v[34:35]
	v_add_f64 v[68:69], v[76:77], v[48:49]
	v_add_f64 v[76:77], v[48:49], -v[44:45]
	v_fma_f64 v[72:73], v[32:33], s[8:9], v[72:73]
	v_fma_f64 v[12:13], v[84:85], s[6:7], v[12:13]
	v_add_f64 v[84:85], v[23:24], v[30:31]
	v_fma_f64 v[86:87], v[90:91], s[8:9], v[21:22]
	v_fma_f64 v[21:22], v[90:91], s[16:17], v[21:22]
	v_add_f64 v[42:43], v[42:43], -v[46:47]
	v_add_f64 v[44:45], v[44:45], -v[48:49]
	v_add_f64 v[48:49], v[78:79], v[23:24]
	v_add_f64 v[46:47], v[74:75], v[76:77]
	v_fma_f64 v[72:73], v[90:91], s[0:1], v[72:73]
	v_fma_f64 v[74:75], v[84:85], -0.5, v[0:1]
	v_fma_f64 v[78:79], v[32:33], s[14:15], v[86:87]
	v_fma_f64 v[21:22], v[32:33], s[0:1], v[21:22]
	v_add_f64 v[32:33], v[34:35], v[16:17]
	v_add_f64 v[76:77], v[50:51], -v[56:57]
	v_add_f64 v[42:43], v[42:43], v[44:45]
	v_add_f64 v[44:45], v[48:49], v[30:31]
	v_mul_f64 v[145:146], v[125:126], v[94:95]
	v_mul_f64 v[94:95], v[18:19], v[94:95]
	v_fma_f64 v[48:49], v[46:47], s[6:7], v[70:71]
	v_fma_f64 v[46:47], v[46:47], s[6:7], v[72:73]
	v_add_f64 v[72:73], v[52:53], -v[54:55]
	v_fma_f64 v[0:1], v[32:33], -0.5, v[0:1]
	v_fma_f64 v[70:71], v[76:77], s[8:9], v[74:75]
	v_fma_f64 v[78:79], v[42:43], s[6:7], v[78:79]
	;; [unrolled: 1-line block ×3, first 2 shown]
	v_add_f64 v[21:22], v[44:45], v[16:17]
	v_add_f64 v[32:33], v[34:35], -v[23:24]
	v_add_f64 v[44:45], v[16:17], -v[30:31]
	v_fma_f64 v[74:75], v[76:77], s[16:17], v[74:75]
	v_add_f64 v[84:85], v[115:116], v[50:51]
	v_fma_f64 v[18:19], v[18:19], v[92:93], -v[145:146]
	v_fma_f64 v[64:65], v[125:126], v[92:93], v[94:95]
	v_fma_f64 v[88:89], v[72:73], s[16:17], v[0:1]
	v_add_f64 v[90:91], v[23:24], -v[34:35]
	v_add_f64 v[92:93], v[30:31], -v[16:17]
	v_fma_f64 v[70:71], v[72:73], s[0:1], v[70:71]
	v_add_f64 v[32:33], v[32:33], v[44:45]
	v_fma_f64 v[44:45], v[72:73], s[14:15], v[74:75]
	v_fma_f64 v[0:1], v[72:73], s[8:9], v[0:1]
	v_add_f64 v[72:73], v[84:85], v[52:53]
	v_add_f64 v[86:87], v[52:53], v[54:55]
	v_add_f64 v[16:17], v[34:35], -v[16:17]
	v_fma_f64 v[34:35], v[76:77], s[0:1], v[88:89]
	v_add_f64 v[84:85], v[90:91], v[92:93]
	v_fma_f64 v[70:71], v[32:33], s[6:7], v[70:71]
	v_fma_f64 v[32:33], v[32:33], s[6:7], v[44:45]
	;; [unrolled: 1-line block ×3, first 2 shown]
	v_add_f64 v[44:45], v[72:73], v[54:55]
	v_add_f64 v[72:73], v[50:51], v[56:57]
	v_fma_f64 v[74:75], v[86:87], -0.5, v[115:116]
	v_add_f64 v[23:24], v[23:24], -v[30:31]
	v_fma_f64 v[29:30], v[84:85], s[6:7], v[34:35]
	v_add_f64 v[34:35], v[25:26], v[4:5]
	v_add_f64 v[86:87], v[50:51], -v[52:53]
	v_add_f64 v[88:89], v[56:57], -v[54:55]
	v_fma_f64 v[0:1], v[84:85], s[6:7], v[0:1]
	v_fma_f64 v[72:73], v[72:73], -0.5, v[115:116]
	v_fma_f64 v[76:77], v[16:17], s[16:17], v[74:75]
	v_add_f64 v[84:85], v[2:3], v[8:9]
	v_add_f64 v[90:91], v[58:59], -v[64:65]
	v_fma_f64 v[34:35], v[34:35], -0.5, v[2:3]
	v_fma_f64 v[74:75], v[16:17], s[8:9], v[74:75]
	v_add_f64 v[86:87], v[86:87], v[88:89]
	v_add_f64 v[50:51], v[52:53], -v[50:51]
	v_fma_f64 v[88:89], v[23:24], s[8:9], v[72:73]
	v_add_f64 v[52:53], v[54:55], -v[56:57]
	v_add_f64 v[44:45], v[44:45], v[56:57]
	v_fma_f64 v[76:77], v[23:24], s[14:15], v[76:77]
	v_fma_f64 v[54:55], v[23:24], s[16:17], v[72:73]
	v_add_f64 v[56:57], v[84:85], v[25:26]
	v_fma_f64 v[72:73], v[90:91], s[8:9], v[34:35]
	v_add_f64 v[84:85], v[60:61], -v[62:63]
	v_add_f64 v[92:93], v[8:9], -v[25:26]
	;; [unrolled: 1-line block ×3, first 2 shown]
	v_fma_f64 v[23:24], v[23:24], s[0:1], v[74:75]
	v_add_f64 v[74:75], v[8:9], v[18:19]
	v_fma_f64 v[88:89], v[16:17], s[14:15], v[88:89]
	v_add_f64 v[50:51], v[50:51], v[52:53]
	;; [unrolled: 2-line block ×4, first 2 shown]
	v_fma_f64 v[72:73], v[86:87], s[6:7], v[76:77]
	v_fma_f64 v[2:3], v[74:75], -0.5, v[2:3]
	v_fma_f64 v[74:75], v[86:87], s[6:7], v[23:24]
	v_add_f64 v[23:24], v[60:61], v[62:63]
	v_fma_f64 v[76:77], v[50:51], s[6:7], v[88:89]
	v_add_f64 v[88:89], v[58:59], v[64:65]
	;; [unrolled: 2-line block ×3, first 2 shown]
	v_fma_f64 v[52:53], v[56:57], s[6:7], v[54:55]
	v_fma_f64 v[34:35], v[90:91], s[16:17], v[34:35]
	;; [unrolled: 1-line block ×3, first 2 shown]
	v_add_f64 v[86:87], v[25:26], -v[8:9]
	v_add_f64 v[92:93], v[4:5], -v[18:19]
	v_add_f64 v[94:95], v[117:118], v[58:59]
	v_fma_f64 v[23:24], v[23:24], -0.5, v[117:118]
	v_add_f64 v[8:9], v[8:9], -v[18:19]
	v_add_f64 v[4:5], v[25:26], -v[4:5]
	v_fma_f64 v[25:26], v[88:89], -0.5, v[117:118]
	v_fma_f64 v[2:3], v[84:85], s[8:9], v[2:3]
	v_fma_f64 v[18:19], v[84:85], s[14:15], v[34:35]
	;; [unrolled: 1-line block ×3, first 2 shown]
	v_add_f64 v[54:55], v[86:87], v[92:93]
	v_add_f64 v[84:85], v[94:95], v[60:61]
	v_fma_f64 v[86:87], v[8:9], s[16:17], v[23:24]
	v_add_f64 v[88:89], v[58:59], -v[60:61]
	v_add_f64 v[92:93], v[64:65], -v[62:63]
	v_fma_f64 v[23:24], v[8:9], s[8:9], v[23:24]
	v_fma_f64 v[94:95], v[4:5], s[8:9], v[25:26]
	v_add_f64 v[58:59], v[60:61], -v[58:59]
	v_add_f64 v[60:61], v[62:63], -v[64:65]
	v_fma_f64 v[25:26], v[4:5], s[16:17], v[25:26]
	v_fma_f64 v[2:3], v[90:91], s[14:15], v[2:3]
	v_add_f64 v[62:63], v[84:85], v[62:63]
	v_fma_f64 v[84:85], v[4:5], s[14:15], v[86:87]
	v_add_f64 v[86:87], v[88:89], v[92:93]
	v_fma_f64 v[4:5], v[4:5], s[0:1], v[23:24]
	v_fma_f64 v[23:24], v[8:9], s[14:15], v[94:95]
	v_add_f64 v[58:59], v[58:59], v[60:61]
	v_fma_f64 v[8:9], v[8:9], s[0:1], v[25:26]
	v_fma_f64 v[25:26], v[54:55], s[6:7], v[34:35]
	;; [unrolled: 1-line block ×4, first 2 shown]
	s_movk_i32 s0, 0x190
	v_mov_b32_e32 v123, 3
	v_fma_f64 v[60:61], v[86:87], s[6:7], v[4:5]
	v_mad_u32_u24 v4, v14, s0, 0
	v_lshlrev_b32_sdwa v5, v123, v15 dst_sel:DWORD dst_unused:UNUSED_PAD src0_sel:DWORD src1_sel:BYTE_0
	v_add3_u32 v31, v4, v5, v20
	v_mad_u32_u24 v4, v147, s0, 0
	v_lshlrev_b32_sdwa v5, v123, v148 dst_sel:DWORD dst_unused:UNUSED_PAD src0_sel:DWORD src1_sel:BYTE_0
	ds_write2_b64 v31, v[6:7], v[10:11] offset1:10
	ds_write2_b64 v31, v[66:67], v[12:13] offset0:20 offset1:30
	ds_write_b64 v31, v[27:28] offset:320
	v_add3_u32 v27, v4, v5, v20
	v_add_f64 v[54:55], v[62:63], v[64:65]
	v_fma_f64 v[56:57], v[86:87], s[6:7], v[84:85]
	ds_write2_b64 v27, v[21:22], v[70:71] offset1:10
	ds_write2_b64 v27, v[29:30], v[0:1] offset0:20 offset1:30
	ds_write_b64 v27, v[32:33] offset:320
	v_mad_u32_u24 v0, v149, s0, 0
	v_lshlrev_b32_sdwa v1, v123, v150 dst_sel:DWORD dst_unused:UNUSED_PAD src0_sel:DWORD src1_sel:BYTE_0
	v_fma_f64 v[62:63], v[58:59], s[6:7], v[23:24]
	v_fma_f64 v[58:59], v[58:59], s[6:7], v[8:9]
	v_add3_u32 v28, v0, v1, v20
	ds_write2_b64 v28, v[16:17], v[52:53] offset1:10
	ds_write2_b64 v28, v[25:26], v[2:3] offset0:20 offset1:30
	ds_write_b64 v28, v[18:19] offset:320
	s_waitcnt lgkmcnt(0)
	s_barrier
	ds_read_b64 v[25:26], v36
	ds_read2_b64 v[0:3], v37 offset0:150 offset1:180
	ds_read2_b64 v[4:7], v39 offset0:14 offset1:44
	;; [unrolled: 1-line block ×7, first 2 shown]
	s_waitcnt lgkmcnt(0)
	s_barrier
	ds_write2_b64 v31, v[68:69], v[48:49] offset1:10
	ds_write2_b64 v31, v[78:79], v[42:43] offset0:20 offset1:30
	ds_write_b64 v31, v[46:47] offset:320
	ds_write2_b64 v27, v[44:45], v[72:73] offset1:10
	ds_write2_b64 v27, v[76:77], v[50:51] offset0:20 offset1:30
	ds_write_b64 v27, v[74:75] offset:320
	;; [unrolled: 3-line block ×3, first 2 shown]
	v_lshlrev_b32_e32 v30, 1, v106
	v_mov_b32_e32 v31, 0
	v_lshlrev_b64 v[28:29], 4, v[30:31]
	v_mov_b32_e32 v27, s13
	v_add_co_u32_e64 v28, s[0:1], s12, v28
	v_addc_co_u32_e64 v29, s[0:1], v27, v29, s[0:1]
	s_waitcnt lgkmcnt(0)
	s_barrier
	global_load_dwordx4 v[42:45], v[28:29], off offset:656
	global_load_dwordx4 v[46:49], v[28:29], off offset:640
	v_subrev_u32_e32 v50, 20, v106
	v_cmp_gt_u32_e64 s[0:1], 20, v106
	v_cndmask_b32_e64 v124, v50, v38, s[0:1]
	v_lshlrev_b32_e32 v50, 1, v124
	v_mov_b32_e32 v51, v31
	v_lshlrev_b64 v[50:51], 4, v[50:51]
	v_add_u32_e32 v30, 20, v30
	v_add_co_u32_e64 v58, s[0:1], s12, v50
	v_addc_co_u32_e64 v59, s[0:1], v27, v51, s[0:1]
	global_load_dwordx4 v[50:53], v[58:59], off offset:656
	global_load_dwordx4 v[54:57], v[58:59], off offset:640
	v_lshlrev_b64 v[58:59], 4, v[30:31]
	v_mov_b32_e32 v74, 5
	v_add_co_u32_e64 v66, s[0:1], s12, v58
	v_addc_co_u32_e64 v67, s[0:1], v27, v59, s[0:1]
	v_mov_b32_e32 v27, 41
	v_mul_lo_u16_sdwa v30, v41, v27 dst_sel:DWORD dst_unused:UNUSED_PAD src0_sel:BYTE_0 src1_sel:DWORD
	v_lshrrev_b16_e32 v125, 11, v30
	v_mul_lo_u16_e32 v30, 50, v125
	v_sub_u16_e32 v126, v41, v30
	global_load_dwordx4 v[58:61], v[66:67], off offset:656
	global_load_dwordx4 v[62:65], v[66:67], off offset:640
	v_lshlrev_b32_sdwa v30, v74, v126 dst_sel:DWORD dst_unused:UNUSED_PAD src0_sel:DWORD src1_sel:BYTE_0
	global_load_dwordx4 v[66:69], v30, s[12:13] offset:640
	global_load_dwordx4 v[70:73], v30, s[12:13] offset:656
	v_add_u32_e32 v30, 0x78, v106
	v_mul_lo_u16_sdwa v27, v30, v27 dst_sel:DWORD dst_unused:UNUSED_PAD src0_sel:BYTE_0 src1_sel:DWORD
	v_lshrrev_b16_e32 v27, 11, v27
	v_mul_lo_u16_e32 v27, 50, v27
	v_sub_u16_e32 v27, v30, v27
	v_lshlrev_b32_sdwa v78, v74, v27 dst_sel:DWORD dst_unused:UNUSED_PAD src0_sel:DWORD src1_sel:BYTE_0
	global_load_dwordx4 v[74:77], v78, s[12:13] offset:640
	global_load_dwordx4 v[84:87], v78, s[12:13] offset:656
	ds_read_b64 v[78:79], v36
	ds_read2_b64 v[88:91], v37 offset0:150 offset1:180
	ds_read2_b64 v[92:95], v39 offset0:14 offset1:44
	;; [unrolled: 1-line block ×6, first 2 shown]
	s_mov_b32 s6, 0xe8584caa
	s_mov_b32 s7, 0x3febb67a
	s_mov_b32 s9, 0xbfebb67a
	s_mov_b32 s8, s6
	ds_read2_b64 v[111:114], v37 offset0:90 offset1:120
	v_cmp_lt_u32_e64 s[0:1], 19, v106
	s_waitcnt vmcnt(0) lgkmcnt(0)
	s_barrier
	s_movk_i32 s14, 0x4b0
	v_mul_f64 v[119:120], v[94:95], v[44:45]
	v_mul_f64 v[104:105], v[88:89], v[48:49]
	;; [unrolled: 1-line block ×4, first 2 shown]
	v_fma_f64 v[6:7], v[6:7], v[42:43], -v[119:120]
	v_fma_f64 v[0:1], v[0:1], v[46:47], -v[104:105]
	v_fma_f64 v[46:47], v[88:89], v[46:47], v[48:49]
	v_fma_f64 v[42:43], v[94:95], v[42:43], v[44:45]
	v_mul_f64 v[48:49], v[100:101], v[52:53]
	v_mul_f64 v[121:122], v[90:91], v[56:57]
	;; [unrolled: 1-line block ×4, first 2 shown]
	v_fma_f64 v[12:13], v[12:13], v[50:51], -v[48:49]
	v_fma_f64 v[2:3], v[2:3], v[54:55], -v[121:122]
	v_fma_f64 v[52:53], v[90:91], v[54:55], v[56:57]
	v_fma_f64 v[44:45], v[100:101], v[50:51], v[44:45]
	v_mul_f64 v[48:49], v[102:103], v[60:61]
	v_mul_f64 v[54:55], v[107:108], v[64:65]
	;; [unrolled: 1-line block ×6, first 2 shown]
	v_add_f64 v[68:69], v[25:26], v[0:1]
	v_fma_f64 v[14:15], v[14:15], v[58:59], -v[48:49]
	v_fma_f64 v[16:17], v[16:17], v[62:63], -v[54:55]
	v_fma_f64 v[54:55], v[107:108], v[62:63], v[56:57]
	v_mul_f64 v[56:57], v[115:116], v[72:73]
	v_fma_f64 v[48:49], v[102:103], v[58:59], v[60:61]
	v_fma_f64 v[18:19], v[18:19], v[66:67], -v[64:65]
	v_mul_f64 v[58:59], v[32:33], v[72:73]
	v_mul_f64 v[60:61], v[92:93], v[76:77]
	v_add_f64 v[62:63], v[0:1], v[6:7]
	v_mul_f64 v[64:65], v[117:118], v[86:87]
	v_fma_f64 v[50:51], v[109:110], v[66:67], v[50:51]
	v_fma_f64 v[32:33], v[32:33], v[70:71], -v[56:57]
	v_mul_f64 v[56:57], v[4:5], v[76:77]
	v_mul_f64 v[66:67], v[34:35], v[86:87]
	v_fma_f64 v[58:59], v[115:116], v[70:71], v[58:59]
	v_fma_f64 v[4:5], v[4:5], v[74:75], -v[60:61]
	v_fma_f64 v[25:26], v[62:63], -0.5, v[25:26]
	v_add_f64 v[60:61], v[46:47], -v[42:43]
	v_fma_f64 v[34:35], v[34:35], v[84:85], -v[64:65]
	v_add_f64 v[64:65], v[46:47], v[42:43]
	v_add_f64 v[46:47], v[78:79], v[46:47]
	;; [unrolled: 1-line block ×3, first 2 shown]
	v_fma_f64 v[62:63], v[117:118], v[84:85], v[66:67]
	v_add_f64 v[66:67], v[68:69], v[6:7]
	v_add_f64 v[0:1], v[0:1], -v[6:7]
	v_fma_f64 v[68:69], v[60:61], s[6:7], v[25:26]
	v_fma_f64 v[6:7], v[60:61], s[8:9], v[25:26]
	v_fma_f64 v[64:65], v[64:65], -0.5, v[78:79]
	v_add_f64 v[25:26], v[8:9], v[2:3]
	v_add_f64 v[42:43], v[46:47], v[42:43]
	;; [unrolled: 1-line block ×3, first 2 shown]
	v_fma_f64 v[8:9], v[70:71], -0.5, v[8:9]
	v_add_f64 v[60:61], v[52:53], -v[44:45]
	v_add_f64 v[52:53], v[96:97], v[52:53]
	v_fma_f64 v[56:57], v[92:93], v[74:75], v[56:57]
	v_fma_f64 v[70:71], v[0:1], s[8:9], v[64:65]
	;; [unrolled: 1-line block ×3, first 2 shown]
	v_add_f64 v[0:1], v[25:26], v[12:13]
	v_add_f64 v[25:26], v[16:17], v[14:15]
	v_fma_f64 v[46:47], v[46:47], -0.5, v[96:97]
	v_add_f64 v[2:3], v[2:3], -v[12:13]
	v_fma_f64 v[12:13], v[60:61], s[6:7], v[8:9]
	v_fma_f64 v[8:9], v[60:61], s[8:9], v[8:9]
	v_add_f64 v[44:45], v[52:53], v[44:45]
	v_add_f64 v[52:53], v[54:55], v[48:49]
	;; [unrolled: 1-line block ×4, first 2 shown]
	v_fma_f64 v[10:11], v[25:26], -0.5, v[10:11]
	v_add_f64 v[25:26], v[54:55], -v[48:49]
	v_fma_f64 v[72:73], v[2:3], s[8:9], v[46:47]
	v_fma_f64 v[46:47], v[2:3], s[6:7], v[46:47]
	v_add_f64 v[2:3], v[98:99], v[54:55]
	v_fma_f64 v[52:53], v[52:53], -0.5, v[98:99]
	v_add_f64 v[16:17], v[16:17], -v[14:15]
	v_add_f64 v[14:15], v[60:61], v[14:15]
	v_add_f64 v[60:61], v[21:22], v[18:19]
	v_fma_f64 v[21:22], v[74:75], -0.5, v[21:22]
	v_add_f64 v[74:75], v[50:51], -v[58:59]
	v_fma_f64 v[54:55], v[25:26], s[6:7], v[10:11]
	v_fma_f64 v[10:11], v[25:26], s[8:9], v[10:11]
	v_add_f64 v[48:49], v[2:3], v[48:49]
	v_fma_f64 v[76:77], v[16:17], s[8:9], v[52:53]
	v_add_f64 v[2:3], v[50:51], v[58:59]
	;; [unrolled: 2-line block ×3, first 2 shown]
	v_add_f64 v[25:26], v[4:5], v[34:35]
	v_fma_f64 v[60:61], v[74:75], s[6:7], v[21:22]
	v_fma_f64 v[21:22], v[74:75], s[8:9], v[21:22]
	v_add_f64 v[74:75], v[56:57], v[62:63]
	v_add_f64 v[50:51], v[111:112], v[50:51]
	v_fma_f64 v[2:3], v[2:3], -0.5, v[111:112]
	v_add_f64 v[18:19], v[18:19], -v[32:33]
	v_add_f64 v[32:33], v[23:24], v[4:5]
	v_fma_f64 v[23:24], v[25:26], -0.5, v[23:24]
	v_add_f64 v[25:26], v[56:57], -v[62:63]
	;; [unrolled: 3-line block ×3, first 2 shown]
	v_add_f64 v[50:51], v[50:51], v[58:59]
	v_fma_f64 v[58:59], v[18:19], s[8:9], v[2:3]
	v_fma_f64 v[78:79], v[18:19], s[6:7], v[2:3]
	v_add_f64 v[2:3], v[32:33], v[34:35]
	v_fma_f64 v[18:19], v[25:26], s[6:7], v[23:24]
	v_add_f64 v[34:35], v[56:57], v[62:63]
	v_fma_f64 v[23:24], v[25:26], s[8:9], v[23:24]
	v_fma_f64 v[56:57], v[4:5], s[8:9], v[74:75]
	;; [unrolled: 1-line block ×3, first 2 shown]
	v_mov_b32_e32 v4, 0x4b0
	v_cndmask_b32_e64 v4, 0, v4, s[0:1]
	v_add_u32_e32 v4, 0, v4
	v_lshlrev_b32_e32 v5, 3, v124
	ds_write2_b64 v37, v[66:67], v[68:69] offset1:50
	ds_write_b64 v37, v[6:7] offset:800
	v_add3_u32 v66, v4, v5, v20
	ds_write2_b64 v66, v[0:1], v[12:13] offset1:50
	ds_write_b64 v66, v[8:9] offset:800
	ds_write2_b64 v37, v[14:15], v[54:55] offset0:160 offset1:210
	ds_write_b64 v37, v[10:11] offset:2080
	v_mad_u32_u24 v0, v125, s14, 0
	v_lshlrev_b32_sdwa v1, v123, v126 dst_sel:DWORD dst_unused:UNUSED_PAD src0_sel:DWORD src1_sel:BYTE_0
	v_add3_u32 v54, v0, v1, v20
	v_lshlrev_b32_sdwa v0, v123, v27 dst_sel:DWORD dst_unused:UNUSED_PAD src0_sel:DWORD src1_sel:BYTE_0
	v_add3_u32 v55, 0, v0, v20
	ds_write2_b64 v54, v[16:17], v[60:61] offset1:50
	ds_write_b64 v54, v[21:22] offset:800
	v_add_u32_e32 v60, 0x800, v55
	ds_write2_b64 v60, v[2:3], v[18:19] offset0:44 offset1:94
	ds_write_b64 v55, v[23:24] offset:3200
	s_waitcnt lgkmcnt(0)
	s_barrier
	ds_read_b64 v[32:33], v36
	ds_read2_b64 v[4:7], v37 offset0:150 offset1:180
	ds_read2_b64 v[8:11], v39 offset0:14 offset1:44
	;; [unrolled: 1-line block ×7, first 2 shown]
	s_waitcnt lgkmcnt(0)
	s_barrier
	ds_write2_b64 v37, v[42:43], v[70:71] offset1:50
	ds_write_b64 v37, v[64:65] offset:800
	ds_write2_b64 v66, v[44:45], v[72:73] offset1:50
	ds_write_b64 v66, v[46:47] offset:800
	ds_write2_b64 v37, v[48:49], v[76:77] offset0:160 offset1:210
	ds_write_b64 v37, v[52:53] offset:2080
	ds_write2_b64 v54, v[50:51], v[58:59] offset1:50
	ds_write_b64 v54, v[78:79] offset:800
	ds_write2_b64 v60, v[34:35], v[56:57] offset0:44 offset1:94
	ds_write_b64 v55, v[62:63] offset:3200
	s_waitcnt lgkmcnt(0)
	s_barrier
	s_and_saveexec_b64 s[0:1], vcc
	s_cbranch_execz .LBB0_21
; %bb.20:
	v_lshlrev_b32_e32 v30, 1, v30
	v_lshlrev_b64 v[34:35], 4, v[30:31]
	v_mov_b32_e32 v39, s13
	v_add_co_u32_e32 v34, vcc, s12, v34
	v_addc_co_u32_e32 v35, vcc, v39, v35, vcc
	v_lshlrev_b32_e32 v30, 1, v41
	global_load_dwordx4 v[42:45], v[34:35], off offset:2256
	global_load_dwordx4 v[46:49], v[34:35], off offset:2240
	v_lshlrev_b64 v[34:35], 4, v[30:31]
	v_lshlrev_b32_e32 v30, 1, v40
	v_add_co_u32_e32 v34, vcc, s12, v34
	v_addc_co_u32_e32 v35, vcc, v39, v35, vcc
	global_load_dwordx4 v[50:53], v[34:35], off offset:2256
	global_load_dwordx4 v[54:57], v[34:35], off offset:2240
	v_lshlrev_b64 v[34:35], 4, v[30:31]
	global_load_dwordx4 v[58:61], v[28:29], off offset:2240
	v_add_co_u32_e32 v34, vcc, s12, v34
	v_addc_co_u32_e32 v35, vcc, v39, v35, vcc
	global_load_dwordx4 v[62:65], v[34:35], off offset:2256
	global_load_dwordx4 v[66:69], v[34:35], off offset:2240
	v_lshlrev_b32_e32 v30, 1, v38
	v_lshlrev_b64 v[30:31], 4, v[30:31]
	v_add_u32_e32 v102, 0x800, v37
	v_add_co_u32_e32 v30, vcc, s12, v30
	v_addc_co_u32_e32 v31, vcc, v39, v31, vcc
	global_load_dwordx4 v[38:41], v[30:31], off offset:2240
	global_load_dwordx4 v[70:73], v[30:31], off offset:2256
	;; [unrolled: 1-line block ×3, first 2 shown]
	v_mul_lo_u32 v34, s5, v82
	v_mul_lo_u32 v35, s4, v83
	v_mad_u64_u32 v[78:79], s[0:1], s4, v82, 0
	ds_read2_b64 v[28:31], v37 offset0:90 offset1:120
	ds_read2_b64 v[82:85], v37 offset0:210 offset1:240
	;; [unrolled: 1-line block ×7, first 2 shown]
	s_mov_b32 s0, 0x1b4e81b5
	v_add3_u32 v79, v79, v35, v34
	s_movk_i32 s1, 0x96
	s_waitcnt vmcnt(9) lgkmcnt(1)
	v_mul_f64 v[109:110], v[100:101], v[44:45]
	s_waitcnt vmcnt(8)
	v_mul_f64 v[107:108], v[94:95], v[48:49]
	v_mul_f64 v[48:49], v[8:9], v[48:49]
	v_mul_f64 v[44:45], v[26:27], v[44:45]
	s_waitcnt vmcnt(7)
	v_mul_f64 v[113:114], v[98:99], v[52:53]
	s_waitcnt vmcnt(6)
	v_mul_f64 v[111:112], v[84:85], v[56:57]
	v_mul_f64 v[56:57], v[22:23], v[56:57]
	;; [unrolled: 1-line block ×3, first 2 shown]
	v_fma_f64 v[8:9], v[8:9], v[46:47], -v[107:108]
	v_fma_f64 v[26:27], v[26:27], v[42:43], -v[109:110]
	v_fma_f64 v[46:47], v[46:47], v[94:95], v[48:49]
	s_waitcnt vmcnt(4) lgkmcnt(0)
	v_mul_f64 v[117:118], v[104:105], v[64:65]
	s_waitcnt vmcnt(3)
	v_mul_f64 v[115:116], v[82:83], v[68:69]
	v_mul_f64 v[68:69], v[20:21], v[68:69]
	;; [unrolled: 1-line block ×3, first 2 shown]
	v_fma_f64 v[42:43], v[42:43], v[100:101], v[44:45]
	v_fma_f64 v[22:23], v[22:23], v[54:55], -v[111:112]
	v_fma_f64 v[24:25], v[24:25], v[50:51], -v[113:114]
	s_waitcnt vmcnt(2)
	v_mul_f64 v[119:120], v[92:93], v[40:41]
	s_waitcnt vmcnt(1)
	v_mul_f64 v[121:122], v[102:103], v[72:73]
	v_mul_f64 v[40:41], v[6:7], v[40:41]
	;; [unrolled: 1-line block ×3, first 2 shown]
	v_fma_f64 v[44:45], v[54:55], v[84:85], v[56:57]
	v_fma_f64 v[48:49], v[50:51], v[98:99], v[52:53]
	v_fma_f64 v[50:51], v[20:21], v[66:67], -v[115:116]
	v_fma_f64 v[52:53], v[14:15], v[62:63], -v[117:118]
	v_fma_f64 v[14:15], v[66:67], v[82:83], v[68:69]
	v_fma_f64 v[20:21], v[62:63], v[104:105], v[64:65]
	v_fma_f64 v[54:55], v[6:7], v[38:39], -v[119:120]
	v_fma_f64 v[56:57], v[38:39], v[92:93], v[40:41]
	v_fma_f64 v[62:63], v[70:71], v[102:103], v[72:73]
	v_add_f64 v[6:7], v[46:47], v[42:43]
	v_add_f64 v[39:40], v[46:47], v[30:31]
	;; [unrolled: 1-line block ×7, first 2 shown]
	v_add_f64 v[37:38], v[8:9], -v[26:27]
	v_add_f64 v[46:47], v[46:47], -v[42:43]
	;; [unrolled: 1-line block ×3, first 2 shown]
	v_add_f64 v[82:83], v[44:45], v[28:29]
	v_add_f64 v[44:45], v[44:45], -v[48:49]
	v_add_f64 v[22:23], v[16:17], v[22:23]
	v_add_f64 v[94:95], v[14:15], v[20:21]
	;; [unrolled: 1-line block ×3, first 2 shown]
	v_add_f64 v[102:103], v[14:15], -v[20:21]
	v_fma_f64 v[30:31], v[6:7], -0.5, v[30:31]
	v_add_f64 v[8:9], v[42:43], v[39:40]
	v_fma_f64 v[39:40], v[64:65], -0.5, v[18:19]
	v_fma_f64 v[28:29], v[72:73], -0.5, v[28:29]
	;; [unrolled: 1-line block ×4, first 2 shown]
	v_mul_f64 v[34:35], v[4:5], v[60:61]
	v_add_f64 v[6:7], v[66:67], v[26:27]
	s_waitcnt vmcnt(0)
	v_mul_f64 v[66:67], v[10:11], v[76:77]
	v_add_f64 v[92:93], v[50:51], -v[52:53]
	v_add_f64 v[18:19], v[48:49], v[82:83]
	v_add_f64 v[16:17], v[22:23], v[24:25]
	v_fma_f64 v[48:49], v[94:95], -0.5, v[88:89]
	v_add_f64 v[14:15], v[20:21], v[98:99]
	v_fma_f64 v[22:23], v[37:38], s[6:7], v[30:31]
	v_fma_f64 v[26:27], v[37:38], s[8:9], v[30:31]
	;; [unrolled: 1-line block ×9, first 2 shown]
	v_fma_f64 v[68:69], v[12:13], v[70:71], -v[121:122]
	v_fma_f64 v[45:46], v[102:103], s[6:7], v[64:65]
	v_mul_f64 v[60:61], v[90:91], v[60:61]
	v_mul_f64 v[64:65], v[96:97], v[76:77]
	v_fma_f64 v[70:71], v[58:59], v[90:91], v[34:35]
	v_fma_f64 v[66:67], v[74:75], v[96:97], v[66:67]
	;; [unrolled: 1-line block ×4, first 2 shown]
	v_add_f64 v[2:3], v[2:3], v[50:51]
	v_add_f64 v[49:50], v[56:57], v[62:63]
	;; [unrolled: 1-line block ×4, first 2 shown]
	v_fma_f64 v[4:5], v[4:5], v[58:59], -v[60:61]
	v_fma_f64 v[10:11], v[10:11], v[74:75], -v[64:65]
	v_add_f64 v[58:59], v[70:71], v[66:67]
	ds_read_b64 v[64:65], v36
	v_mul_hi_u32 v36, v106, s0
	v_add_f64 v[12:13], v[2:3], v[52:53]
	v_add_f64 v[51:52], v[54:55], -v[68:69]
	v_fma_f64 v[49:50], v[49:50], -0.5, v[86:87]
	v_fma_f64 v[34:35], v[34:35], -0.5, v[0:1]
	v_add_f64 v[60:61], v[56:57], -v[62:63]
	v_add_f64 v[53:54], v[0:1], v[54:55]
	v_add_f64 v[55:56], v[62:63], v[72:73]
	v_add_f64 v[62:63], v[4:5], v[10:11]
	v_lshrrev_b32_e32 v36, 4, v36
	v_mul_lo_u32 v36, v36, s1
	s_waitcnt lgkmcnt(0)
	v_fma_f64 v[57:58], v[58:59], -0.5, v[64:65]
	v_add_f64 v[64:65], v[70:71], v[64:65]
	v_fma_f64 v[2:3], v[51:52], s[6:7], v[49:50]
	v_fma_f64 v[51:52], v[51:52], s[8:9], v[49:50]
	v_add_f64 v[74:75], v[4:5], -v[10:11]
	v_fma_f64 v[0:1], v[60:61], s[8:9], v[34:35]
	v_fma_f64 v[49:50], v[60:61], s[6:7], v[34:35]
	v_add_f64 v[53:54], v[53:54], v[68:69]
	v_fma_f64 v[61:62], v[62:63], -0.5, v[32:33]
	v_add_f64 v[68:69], v[70:71], -v[66:67]
	v_sub_u32_e32 v36, v106, v36
	v_add_f64 v[4:5], v[32:33], v[4:5]
	v_mad_u64_u32 v[70:71], s[4:5], s2, v36, 0
	v_add_f64 v[63:64], v[64:65], v[66:67]
	v_fma_f64 v[34:35], v[74:75], s[6:7], v[57:58]
	v_mov_b32_e32 v32, v71
	v_mad_u64_u32 v[65:66], s[4:5], s3, v36, v[32:33]
	v_fma_f64 v[59:60], v[74:75], s[8:9], v[57:58]
	v_fma_f64 v[32:33], v[68:69], s[8:9], v[61:62]
	;; [unrolled: 1-line block ×3, first 2 shown]
	v_add_f64 v[61:62], v[4:5], v[10:11]
	v_lshlrev_b64 v[4:5], 4, v[78:79]
	v_mov_b32_e32 v71, v65
	v_mov_b32_e32 v10, s11
	v_add_co_u32_e32 v65, vcc, s10, v4
	v_add_u32_e32 v67, 0x96, v36
	v_addc_co_u32_e32 v66, vcc, v10, v5, vcc
	v_mad_u64_u32 v[10:11], s[4:5], s2, v67, 0
	v_lshlrev_b64 v[4:5], 4, v[80:81]
	v_add_u32_e32 v36, 0x12c, v36
	v_add_co_u32_e32 v68, vcc, v65, v4
	v_addc_co_u32_e32 v69, vcc, v66, v5, vcc
	v_lshlrev_b64 v[4:5], 4, v[70:71]
	v_mad_u64_u32 v[65:66], s[4:5], s3, v67, v[11:12]
	v_add_co_u32_e32 v4, vcc, v68, v4
	v_addc_co_u32_e32 v5, vcc, v69, v5, vcc
	global_store_dwordx4 v[4:5], v[61:64], off
	v_mov_b32_e32 v11, v65
	v_add_u32_e32 v61, 30, v106
	v_lshlrev_b64 v[4:5], 4, v[10:11]
	v_mul_hi_u32 v62, v61, s0
	v_add_co_u32_e32 v4, vcc, v68, v4
	v_addc_co_u32_e32 v5, vcc, v69, v5, vcc
	v_mad_u64_u32 v[10:11], s[4:5], s2, v36, 0
	global_store_dwordx4 v[4:5], v[57:60], off
	v_mov_b32_e32 v4, v11
	v_lshrrev_b32_e32 v57, 4, v62
	v_mul_lo_u32 v58, v57, s1
	v_mad_u64_u32 v[4:5], s[4:5], s3, v36, v[4:5]
	s_movk_i32 s4, 0x1c2
	v_sub_u32_e32 v5, v61, v58
	v_mad_u64_u32 v[57:58], s[6:7], v57, s4, v[5:6]
	v_mov_b32_e32 v11, v4
	v_lshlrev_b64 v[4:5], 4, v[10:11]
	v_mad_u64_u32 v[10:11], s[6:7], s2, v57, 0
	v_add_u32_e32 v36, 0x96, v57
	v_add_co_u32_e32 v4, vcc, v68, v4
	v_mad_u64_u32 v[58:59], s[6:7], s3, v57, v[11:12]
	v_mad_u64_u32 v[59:60], s[6:7], s2, v36, 0
	v_addc_co_u32_e32 v5, vcc, v69, v5, vcc
	v_mov_b32_e32 v11, v58
	global_store_dwordx4 v[4:5], v[32:35], off
	v_lshlrev_b64 v[4:5], 4, v[10:11]
	v_mov_b32_e32 v10, v60
	v_mad_u64_u32 v[10:11], s[6:7], s3, v36, v[10:11]
	v_add_u32_e32 v33, 60, v106
	v_mul_hi_u32 v34, v33, s0
	v_add_co_u32_e32 v4, vcc, v68, v4
	v_addc_co_u32_e32 v5, vcc, v69, v5, vcc
	v_mov_b32_e32 v60, v10
	v_add_u32_e32 v32, 0x12c, v57
	global_store_dwordx4 v[4:5], v[53:56], off
	v_lshlrev_b64 v[4:5], 4, v[59:60]
	v_mad_u64_u32 v[10:11], s[6:7], s2, v32, 0
	v_lshrrev_b32_e32 v34, 4, v34
	v_add_co_u32_e32 v4, vcc, v68, v4
	v_mul_lo_u32 v35, v34, s1
	v_addc_co_u32_e32 v5, vcc, v69, v5, vcc
	global_store_dwordx4 v[4:5], v[49:52], off
	v_mov_b32_e32 v4, v11
	v_mad_u64_u32 v[4:5], s[6:7], s3, v32, v[4:5]
	v_sub_u32_e32 v5, v33, v35
	v_mad_u64_u32 v[32:33], s[6:7], v34, s4, v[5:6]
	v_mov_b32_e32 v11, v4
	v_lshlrev_b64 v[4:5], 4, v[10:11]
	v_mad_u64_u32 v[10:11], s[6:7], s2, v32, 0
	v_add_u32_e32 v36, 0x96, v32
	v_add_co_u32_e32 v4, vcc, v68, v4
	v_mad_u64_u32 v[33:34], s[6:7], s3, v32, v[11:12]
	v_mad_u64_u32 v[34:35], s[6:7], s2, v36, 0
	v_addc_co_u32_e32 v5, vcc, v69, v5, vcc
	global_store_dwordx4 v[4:5], v[0:3], off
	v_mov_b32_e32 v11, v33
	v_mov_b32_e32 v2, v35
	v_mad_u64_u32 v[2:3], s[6:7], s3, v36, v[2:3]
	v_lshlrev_b64 v[0:1], 4, v[10:11]
	v_add_u32_e32 v5, 0x5a, v106
	v_mul_hi_u32 v10, v5, s0
	v_add_co_u32_e32 v0, vcc, v68, v0
	v_addc_co_u32_e32 v1, vcc, v69, v1, vcc
	v_mov_b32_e32 v35, v2
	v_add_u32_e32 v4, 0x12c, v32
	global_store_dwordx4 v[0:1], v[12:15], off
	v_lshlrev_b64 v[0:1], 4, v[34:35]
	v_mad_u64_u32 v[2:3], s[6:7], s2, v4, 0
	v_lshrrev_b32_e32 v10, 4, v10
	v_add_co_u32_e32 v0, vcc, v68, v0
	v_mul_lo_u32 v11, v10, s1
	v_addc_co_u32_e32 v1, vcc, v69, v1, vcc
	global_store_dwordx4 v[0:1], v[45:48], off
	v_mov_b32_e32 v0, v3
	v_mad_u64_u32 v[0:1], s[6:7], s3, v4, v[0:1]
	v_sub_u32_e32 v1, v5, v11
	v_mad_u64_u32 v[4:5], s[6:7], v10, s4, v[1:2]
	v_mov_b32_e32 v3, v0
	v_lshlrev_b64 v[0:1], 4, v[2:3]
	v_mad_u64_u32 v[2:3], s[6:7], s2, v4, 0
	v_add_u32_e32 v5, 0x96, v4
	v_add_co_u32_e32 v0, vcc, v68, v0
	v_mad_u64_u32 v[10:11], s[6:7], s3, v4, v[3:4]
	v_mad_u64_u32 v[11:12], s[6:7], s2, v5, 0
	v_addc_co_u32_e32 v1, vcc, v69, v1, vcc
	v_mov_b32_e32 v3, v10
	global_store_dwordx4 v[0:1], v[41:44], off
	v_lshlrev_b64 v[0:1], 4, v[2:3]
	v_mov_b32_e32 v2, v12
	v_mad_u64_u32 v[2:3], s[6:7], s3, v5, v[2:3]
	v_add_u32_e32 v5, 0x78, v106
	v_mul_hi_u32 v10, v5, s0
	v_add_co_u32_e32 v0, vcc, v68, v0
	v_addc_co_u32_e32 v1, vcc, v69, v1, vcc
	v_mov_b32_e32 v12, v2
	v_lshrrev_b32_e32 v10, 4, v10
	global_store_dwordx4 v[0:1], v[16:19], off
	v_lshlrev_b64 v[0:1], 4, v[11:12]
	v_add_u32_e32 v11, 0x12c, v4
	v_mul_lo_u32 v4, v10, s1
	v_mad_u64_u32 v[2:3], s[6:7], s2, v11, 0
	v_add_co_u32_e32 v0, vcc, v68, v0
	v_sub_u32_e32 v4, v5, v4
	v_mad_u64_u32 v[4:5], s[0:1], v10, s4, v[4:5]
	v_addc_co_u32_e32 v1, vcc, v69, v1, vcc
	v_mad_u64_u32 v[10:11], s[0:1], s3, v11, v[3:4]
	v_mad_u64_u32 v[11:12], s[0:1], s2, v4, 0
	v_mov_b32_e32 v3, v10
	global_store_dwordx4 v[0:1], v[37:40], off
	v_lshlrev_b64 v[0:1], 4, v[2:3]
	v_mov_b32_e32 v2, v12
	v_mad_u64_u32 v[2:3], s[0:1], s3, v4, v[2:3]
	v_add_u32_e32 v5, 0x96, v4
	v_add_co_u32_e32 v0, vcc, v68, v0
	v_mov_b32_e32 v12, v2
	v_mad_u64_u32 v[2:3], s[0:1], s2, v5, 0
	v_addc_co_u32_e32 v1, vcc, v69, v1, vcc
	global_store_dwordx4 v[0:1], v[28:31], off
	v_lshlrev_b64 v[0:1], 4, v[11:12]
	v_mad_u64_u32 v[10:11], s[0:1], s3, v5, v[3:4]
	v_add_u32_e32 v11, 0x12c, v4
	v_mad_u64_u32 v[4:5], s[0:1], s2, v11, 0
	v_add_co_u32_e32 v0, vcc, v68, v0
	v_addc_co_u32_e32 v1, vcc, v69, v1, vcc
	v_mov_b32_e32 v3, v10
	global_store_dwordx4 v[0:1], v[6:9], off
	v_lshlrev_b64 v[0:1], 4, v[2:3]
	v_mov_b32_e32 v2, v5
	v_mad_u64_u32 v[2:3], s[0:1], s3, v11, v[2:3]
	v_add_co_u32_e32 v0, vcc, v68, v0
	v_addc_co_u32_e32 v1, vcc, v69, v1, vcc
	v_mov_b32_e32 v5, v2
	global_store_dwordx4 v[0:1], v[24:27], off
	v_lshlrev_b64 v[0:1], 4, v[4:5]
	v_add_co_u32_e32 v0, vcc, v68, v0
	v_addc_co_u32_e32 v1, vcc, v69, v1, vcc
	global_store_dwordx4 v[0:1], v[20:23], off
.LBB0_21:
	s_endpgm
	.section	.rodata,"a",@progbits
	.p2align	6, 0x0
	.amdhsa_kernel fft_rtc_fwd_len450_factors_10_5_3_3_wgs_120_tpt_30_halfLds_dp_op_CI_CI_sbrr_dirReg
		.amdhsa_group_segment_fixed_size 0
		.amdhsa_private_segment_fixed_size 0
		.amdhsa_kernarg_size 104
		.amdhsa_user_sgpr_count 6
		.amdhsa_user_sgpr_private_segment_buffer 1
		.amdhsa_user_sgpr_dispatch_ptr 0
		.amdhsa_user_sgpr_queue_ptr 0
		.amdhsa_user_sgpr_kernarg_segment_ptr 1
		.amdhsa_user_sgpr_dispatch_id 0
		.amdhsa_user_sgpr_flat_scratch_init 0
		.amdhsa_user_sgpr_private_segment_size 0
		.amdhsa_uses_dynamic_stack 0
		.amdhsa_system_sgpr_private_segment_wavefront_offset 0
		.amdhsa_system_sgpr_workgroup_id_x 1
		.amdhsa_system_sgpr_workgroup_id_y 0
		.amdhsa_system_sgpr_workgroup_id_z 0
		.amdhsa_system_sgpr_workgroup_info 0
		.amdhsa_system_vgpr_workitem_id 0
		.amdhsa_next_free_vgpr 151
		.amdhsa_next_free_sgpr 32
		.amdhsa_reserve_vcc 1
		.amdhsa_reserve_flat_scratch 0
		.amdhsa_float_round_mode_32 0
		.amdhsa_float_round_mode_16_64 0
		.amdhsa_float_denorm_mode_32 3
		.amdhsa_float_denorm_mode_16_64 3
		.amdhsa_dx10_clamp 1
		.amdhsa_ieee_mode 1
		.amdhsa_fp16_overflow 0
		.amdhsa_exception_fp_ieee_invalid_op 0
		.amdhsa_exception_fp_denorm_src 0
		.amdhsa_exception_fp_ieee_div_zero 0
		.amdhsa_exception_fp_ieee_overflow 0
		.amdhsa_exception_fp_ieee_underflow 0
		.amdhsa_exception_fp_ieee_inexact 0
		.amdhsa_exception_int_div_zero 0
	.end_amdhsa_kernel
	.text
.Lfunc_end0:
	.size	fft_rtc_fwd_len450_factors_10_5_3_3_wgs_120_tpt_30_halfLds_dp_op_CI_CI_sbrr_dirReg, .Lfunc_end0-fft_rtc_fwd_len450_factors_10_5_3_3_wgs_120_tpt_30_halfLds_dp_op_CI_CI_sbrr_dirReg
                                        ; -- End function
	.section	.AMDGPU.csdata,"",@progbits
; Kernel info:
; codeLenInByte = 11660
; NumSgprs: 36
; NumVgprs: 151
; ScratchSize: 0
; MemoryBound: 1
; FloatMode: 240
; IeeeMode: 1
; LDSByteSize: 0 bytes/workgroup (compile time only)
; SGPRBlocks: 4
; VGPRBlocks: 37
; NumSGPRsForWavesPerEU: 36
; NumVGPRsForWavesPerEU: 151
; Occupancy: 1
; WaveLimiterHint : 1
; COMPUTE_PGM_RSRC2:SCRATCH_EN: 0
; COMPUTE_PGM_RSRC2:USER_SGPR: 6
; COMPUTE_PGM_RSRC2:TRAP_HANDLER: 0
; COMPUTE_PGM_RSRC2:TGID_X_EN: 1
; COMPUTE_PGM_RSRC2:TGID_Y_EN: 0
; COMPUTE_PGM_RSRC2:TGID_Z_EN: 0
; COMPUTE_PGM_RSRC2:TIDIG_COMP_CNT: 0
	.type	__hip_cuid_b7f007f942c20337,@object ; @__hip_cuid_b7f007f942c20337
	.section	.bss,"aw",@nobits
	.globl	__hip_cuid_b7f007f942c20337
__hip_cuid_b7f007f942c20337:
	.byte	0                               ; 0x0
	.size	__hip_cuid_b7f007f942c20337, 1

	.ident	"AMD clang version 19.0.0git (https://github.com/RadeonOpenCompute/llvm-project roc-6.4.0 25133 c7fe45cf4b819c5991fe208aaa96edf142730f1d)"
	.section	".note.GNU-stack","",@progbits
	.addrsig
	.addrsig_sym __hip_cuid_b7f007f942c20337
	.amdgpu_metadata
---
amdhsa.kernels:
  - .args:
      - .actual_access:  read_only
        .address_space:  global
        .offset:         0
        .size:           8
        .value_kind:     global_buffer
      - .offset:         8
        .size:           8
        .value_kind:     by_value
      - .actual_access:  read_only
        .address_space:  global
        .offset:         16
        .size:           8
        .value_kind:     global_buffer
      - .actual_access:  read_only
        .address_space:  global
        .offset:         24
        .size:           8
        .value_kind:     global_buffer
      - .actual_access:  read_only
        .address_space:  global
        .offset:         32
        .size:           8
        .value_kind:     global_buffer
      - .offset:         40
        .size:           8
        .value_kind:     by_value
      - .actual_access:  read_only
        .address_space:  global
        .offset:         48
        .size:           8
        .value_kind:     global_buffer
      - .actual_access:  read_only
        .address_space:  global
        .offset:         56
        .size:           8
        .value_kind:     global_buffer
      - .offset:         64
        .size:           4
        .value_kind:     by_value
      - .actual_access:  read_only
        .address_space:  global
        .offset:         72
        .size:           8
        .value_kind:     global_buffer
      - .actual_access:  read_only
        .address_space:  global
        .offset:         80
        .size:           8
        .value_kind:     global_buffer
      - .actual_access:  read_only
        .address_space:  global
        .offset:         88
        .size:           8
        .value_kind:     global_buffer
      - .actual_access:  write_only
        .address_space:  global
        .offset:         96
        .size:           8
        .value_kind:     global_buffer
    .group_segment_fixed_size: 0
    .kernarg_segment_align: 8
    .kernarg_segment_size: 104
    .language:       OpenCL C
    .language_version:
      - 2
      - 0
    .max_flat_workgroup_size: 120
    .name:           fft_rtc_fwd_len450_factors_10_5_3_3_wgs_120_tpt_30_halfLds_dp_op_CI_CI_sbrr_dirReg
    .private_segment_fixed_size: 0
    .sgpr_count:     36
    .sgpr_spill_count: 0
    .symbol:         fft_rtc_fwd_len450_factors_10_5_3_3_wgs_120_tpt_30_halfLds_dp_op_CI_CI_sbrr_dirReg.kd
    .uniform_work_group_size: 1
    .uses_dynamic_stack: false
    .vgpr_count:     151
    .vgpr_spill_count: 0
    .wavefront_size: 64
amdhsa.target:   amdgcn-amd-amdhsa--gfx906
amdhsa.version:
  - 1
  - 2
...

	.end_amdgpu_metadata
